;; amdgpu-corpus repo=ROCm/rocFFT kind=compiled arch=gfx1201 opt=O3
	.text
	.amdgcn_target "amdgcn-amd-amdhsa--gfx1201"
	.amdhsa_code_object_version 6
	.protected	fft_rtc_back_len150_factors_10_5_3_wgs_60_tpt_5_halfLds_dp_op_CI_CI_unitstride_sbrr_R2C_dirReg ; -- Begin function fft_rtc_back_len150_factors_10_5_3_wgs_60_tpt_5_halfLds_dp_op_CI_CI_unitstride_sbrr_R2C_dirReg
	.globl	fft_rtc_back_len150_factors_10_5_3_wgs_60_tpt_5_halfLds_dp_op_CI_CI_unitstride_sbrr_R2C_dirReg
	.p2align	8
	.type	fft_rtc_back_len150_factors_10_5_3_wgs_60_tpt_5_halfLds_dp_op_CI_CI_unitstride_sbrr_R2C_dirReg,@function
fft_rtc_back_len150_factors_10_5_3_wgs_60_tpt_5_halfLds_dp_op_CI_CI_unitstride_sbrr_R2C_dirReg: ; @fft_rtc_back_len150_factors_10_5_3_wgs_60_tpt_5_halfLds_dp_op_CI_CI_unitstride_sbrr_R2C_dirReg
; %bb.0:
	s_load_b128 s[8:11], s[0:1], 0x0
	v_mul_u32_u24_e32 v1, 0x3334, v0
	s_clause 0x1
	s_load_b128 s[4:7], s[0:1], 0x58
	s_load_b128 s[12:15], s[0:1], 0x18
	v_mov_b32_e32 v5, 0
	v_lshrrev_b32_e32 v3, 16, v1
	v_mov_b32_e32 v1, 0
	v_mov_b32_e32 v2, 0
	s_delay_alu instid0(VALU_DEP_3) | instskip(NEXT) | instid1(VALU_DEP_2)
	v_mad_co_u64_u32 v[3:4], null, ttmp9, 12, v[3:4]
	v_dual_mov_b32 v4, v5 :: v_dual_mov_b32 v111, v2
	s_delay_alu instid0(VALU_DEP_1) | instskip(NEXT) | instid1(VALU_DEP_3)
	v_dual_mov_b32 v110, v1 :: v_dual_mov_b32 v115, v4
	v_mov_b32_e32 v114, v3
	s_wait_kmcnt 0x0
	v_cmp_lt_u64_e64 s2, s[10:11], 2
	s_delay_alu instid0(VALU_DEP_1)
	s_and_b32 vcc_lo, exec_lo, s2
	s_cbranch_vccnz .LBB0_8
; %bb.1:
	s_load_b64 s[2:3], s[0:1], 0x10
	v_dual_mov_b32 v1, 0 :: v_dual_mov_b32 v8, v4
	v_dual_mov_b32 v2, 0 :: v_dual_mov_b32 v7, v3
	s_add_nc_u64 s[16:17], s[14:15], 8
	s_add_nc_u64 s[18:19], s[12:13], 8
	s_mov_b64 s[20:21], 1
	s_delay_alu instid0(VALU_DEP_1)
	v_dual_mov_b32 v111, v2 :: v_dual_mov_b32 v110, v1
	s_wait_kmcnt 0x0
	s_add_nc_u64 s[22:23], s[2:3], 8
	s_mov_b32 s3, 0
.LBB0_2:                                ; =>This Inner Loop Header: Depth=1
	s_load_b64 s[24:25], s[22:23], 0x0
                                        ; implicit-def: $vgpr114_vgpr115
	s_mov_b32 s2, exec_lo
	s_wait_kmcnt 0x0
	v_or_b32_e32 v6, s25, v8
	s_delay_alu instid0(VALU_DEP_1)
	v_cmpx_ne_u64_e32 0, v[5:6]
	s_wait_alu 0xfffe
	s_xor_b32 s26, exec_lo, s2
	s_cbranch_execz .LBB0_4
; %bb.3:                                ;   in Loop: Header=BB0_2 Depth=1
	s_cvt_f32_u32 s2, s24
	s_cvt_f32_u32 s27, s25
	s_sub_nc_u64 s[30:31], 0, s[24:25]
	s_wait_alu 0xfffe
	s_delay_alu instid0(SALU_CYCLE_1) | instskip(SKIP_1) | instid1(SALU_CYCLE_2)
	s_fmamk_f32 s2, s27, 0x4f800000, s2
	s_wait_alu 0xfffe
	v_s_rcp_f32 s2, s2
	s_delay_alu instid0(TRANS32_DEP_1) | instskip(SKIP_1) | instid1(SALU_CYCLE_2)
	s_mul_f32 s2, s2, 0x5f7ffffc
	s_wait_alu 0xfffe
	s_mul_f32 s27, s2, 0x2f800000
	s_wait_alu 0xfffe
	s_delay_alu instid0(SALU_CYCLE_2) | instskip(SKIP_1) | instid1(SALU_CYCLE_2)
	s_trunc_f32 s27, s27
	s_wait_alu 0xfffe
	s_fmamk_f32 s2, s27, 0xcf800000, s2
	s_cvt_u32_f32 s29, s27
	s_wait_alu 0xfffe
	s_delay_alu instid0(SALU_CYCLE_1) | instskip(SKIP_1) | instid1(SALU_CYCLE_2)
	s_cvt_u32_f32 s28, s2
	s_wait_alu 0xfffe
	s_mul_u64 s[34:35], s[30:31], s[28:29]
	s_wait_alu 0xfffe
	s_mul_hi_u32 s37, s28, s35
	s_mul_i32 s36, s28, s35
	s_mul_hi_u32 s2, s28, s34
	s_mul_i32 s33, s29, s34
	s_wait_alu 0xfffe
	s_add_nc_u64 s[36:37], s[2:3], s[36:37]
	s_mul_hi_u32 s27, s29, s34
	s_mul_hi_u32 s38, s29, s35
	s_add_co_u32 s2, s36, s33
	s_wait_alu 0xfffe
	s_add_co_ci_u32 s2, s37, s27
	s_mul_i32 s34, s29, s35
	s_add_co_ci_u32 s35, s38, 0
	s_wait_alu 0xfffe
	s_add_nc_u64 s[34:35], s[2:3], s[34:35]
	s_wait_alu 0xfffe
	v_add_co_u32 v4, s2, s28, s34
	s_delay_alu instid0(VALU_DEP_1) | instskip(SKIP_1) | instid1(VALU_DEP_1)
	s_cmp_lg_u32 s2, 0
	s_add_co_ci_u32 s29, s29, s35
	v_readfirstlane_b32 s28, v4
	s_wait_alu 0xfffe
	s_delay_alu instid0(VALU_DEP_1)
	s_mul_u64 s[30:31], s[30:31], s[28:29]
	s_wait_alu 0xfffe
	s_mul_hi_u32 s35, s28, s31
	s_mul_i32 s34, s28, s31
	s_mul_hi_u32 s2, s28, s30
	s_mul_i32 s33, s29, s30
	s_wait_alu 0xfffe
	s_add_nc_u64 s[34:35], s[2:3], s[34:35]
	s_mul_hi_u32 s27, s29, s30
	s_mul_hi_u32 s28, s29, s31
	s_wait_alu 0xfffe
	s_add_co_u32 s2, s34, s33
	s_add_co_ci_u32 s2, s35, s27
	s_mul_i32 s30, s29, s31
	s_add_co_ci_u32 s31, s28, 0
	s_wait_alu 0xfffe
	s_add_nc_u64 s[30:31], s[2:3], s[30:31]
	s_wait_alu 0xfffe
	v_add_co_u32 v4, s2, v4, s30
	s_delay_alu instid0(VALU_DEP_1) | instskip(SKIP_1) | instid1(VALU_DEP_1)
	s_cmp_lg_u32 s2, 0
	s_add_co_ci_u32 s2, s29, s31
	v_mul_hi_u32 v6, v7, v4
	s_wait_alu 0xfffe
	v_mad_co_u64_u32 v[9:10], null, v7, s2, 0
	v_mad_co_u64_u32 v[11:12], null, v8, v4, 0
	;; [unrolled: 1-line block ×3, first 2 shown]
	s_delay_alu instid0(VALU_DEP_3) | instskip(SKIP_1) | instid1(VALU_DEP_4)
	v_add_co_u32 v4, vcc_lo, v6, v9
	s_wait_alu 0xfffd
	v_add_co_ci_u32_e32 v6, vcc_lo, 0, v10, vcc_lo
	s_delay_alu instid0(VALU_DEP_2) | instskip(SKIP_1) | instid1(VALU_DEP_2)
	v_add_co_u32 v4, vcc_lo, v4, v11
	s_wait_alu 0xfffd
	v_add_co_ci_u32_e32 v4, vcc_lo, v6, v12, vcc_lo
	s_wait_alu 0xfffd
	v_add_co_ci_u32_e32 v6, vcc_lo, 0, v14, vcc_lo
	s_delay_alu instid0(VALU_DEP_2) | instskip(SKIP_1) | instid1(VALU_DEP_2)
	v_add_co_u32 v4, vcc_lo, v4, v13
	s_wait_alu 0xfffd
	v_add_co_ci_u32_e32 v6, vcc_lo, 0, v6, vcc_lo
	s_delay_alu instid0(VALU_DEP_2) | instskip(SKIP_1) | instid1(VALU_DEP_3)
	v_mul_lo_u32 v11, s25, v4
	v_mad_co_u64_u32 v[9:10], null, s24, v4, 0
	v_mul_lo_u32 v12, s24, v6
	s_delay_alu instid0(VALU_DEP_2) | instskip(NEXT) | instid1(VALU_DEP_2)
	v_sub_co_u32 v9, vcc_lo, v7, v9
	v_add3_u32 v10, v10, v12, v11
	s_delay_alu instid0(VALU_DEP_1) | instskip(SKIP_1) | instid1(VALU_DEP_1)
	v_sub_nc_u32_e32 v11, v8, v10
	s_wait_alu 0xfffd
	v_subrev_co_ci_u32_e64 v11, s2, s25, v11, vcc_lo
	v_add_co_u32 v12, s2, v4, 2
	s_wait_alu 0xf1ff
	v_add_co_ci_u32_e64 v13, s2, 0, v6, s2
	v_sub_co_u32 v14, s2, v9, s24
	v_sub_co_ci_u32_e32 v10, vcc_lo, v8, v10, vcc_lo
	s_wait_alu 0xf1ff
	v_subrev_co_ci_u32_e64 v11, s2, 0, v11, s2
	s_delay_alu instid0(VALU_DEP_3) | instskip(NEXT) | instid1(VALU_DEP_3)
	v_cmp_le_u32_e32 vcc_lo, s24, v14
	v_cmp_eq_u32_e64 s2, s25, v10
	s_wait_alu 0xfffd
	v_cndmask_b32_e64 v14, 0, -1, vcc_lo
	v_cmp_le_u32_e32 vcc_lo, s25, v11
	s_wait_alu 0xfffd
	v_cndmask_b32_e64 v15, 0, -1, vcc_lo
	v_cmp_le_u32_e32 vcc_lo, s24, v9
	;; [unrolled: 3-line block ×3, first 2 shown]
	s_wait_alu 0xfffd
	v_cndmask_b32_e64 v16, 0, -1, vcc_lo
	v_cmp_eq_u32_e32 vcc_lo, s25, v11
	s_wait_alu 0xf1ff
	s_delay_alu instid0(VALU_DEP_2)
	v_cndmask_b32_e64 v9, v16, v9, s2
	s_wait_alu 0xfffd
	v_cndmask_b32_e32 v11, v15, v14, vcc_lo
	v_add_co_u32 v14, vcc_lo, v4, 1
	s_wait_alu 0xfffd
	v_add_co_ci_u32_e32 v15, vcc_lo, 0, v6, vcc_lo
	s_delay_alu instid0(VALU_DEP_3) | instskip(SKIP_1) | instid1(VALU_DEP_2)
	v_cmp_ne_u32_e32 vcc_lo, 0, v11
	s_wait_alu 0xfffd
	v_dual_cndmask_b32 v10, v15, v13 :: v_dual_cndmask_b32 v11, v14, v12
	v_cmp_ne_u32_e32 vcc_lo, 0, v9
	s_wait_alu 0xfffd
	s_delay_alu instid0(VALU_DEP_2)
	v_dual_cndmask_b32 v115, v6, v10 :: v_dual_cndmask_b32 v114, v4, v11
.LBB0_4:                                ;   in Loop: Header=BB0_2 Depth=1
	s_wait_alu 0xfffe
	s_and_not1_saveexec_b32 s2, s26
	s_cbranch_execz .LBB0_6
; %bb.5:                                ;   in Loop: Header=BB0_2 Depth=1
	v_cvt_f32_u32_e32 v4, s24
	s_sub_co_i32 s26, 0, s24
	v_mov_b32_e32 v115, v5
	s_delay_alu instid0(VALU_DEP_2) | instskip(NEXT) | instid1(TRANS32_DEP_1)
	v_rcp_iflag_f32_e32 v4, v4
	v_mul_f32_e32 v4, 0x4f7ffffe, v4
	s_delay_alu instid0(VALU_DEP_1) | instskip(SKIP_1) | instid1(VALU_DEP_1)
	v_cvt_u32_f32_e32 v4, v4
	s_wait_alu 0xfffe
	v_mul_lo_u32 v6, s26, v4
	s_delay_alu instid0(VALU_DEP_1) | instskip(NEXT) | instid1(VALU_DEP_1)
	v_mul_hi_u32 v6, v4, v6
	v_add_nc_u32_e32 v4, v4, v6
	s_delay_alu instid0(VALU_DEP_1) | instskip(NEXT) | instid1(VALU_DEP_1)
	v_mul_hi_u32 v4, v7, v4
	v_mul_lo_u32 v6, v4, s24
	s_delay_alu instid0(VALU_DEP_1) | instskip(NEXT) | instid1(VALU_DEP_1)
	v_sub_nc_u32_e32 v6, v7, v6
	v_subrev_nc_u32_e32 v10, s24, v6
	v_cmp_le_u32_e32 vcc_lo, s24, v6
	s_wait_alu 0xfffd
	s_delay_alu instid0(VALU_DEP_2) | instskip(NEXT) | instid1(VALU_DEP_1)
	v_dual_cndmask_b32 v6, v6, v10 :: v_dual_add_nc_u32 v9, 1, v4
	v_cndmask_b32_e32 v4, v4, v9, vcc_lo
	s_delay_alu instid0(VALU_DEP_2) | instskip(NEXT) | instid1(VALU_DEP_2)
	v_cmp_le_u32_e32 vcc_lo, s24, v6
	v_add_nc_u32_e32 v9, 1, v4
	s_wait_alu 0xfffd
	s_delay_alu instid0(VALU_DEP_1)
	v_cndmask_b32_e32 v114, v4, v9, vcc_lo
.LBB0_6:                                ;   in Loop: Header=BB0_2 Depth=1
	s_wait_alu 0xfffe
	s_or_b32 exec_lo, exec_lo, s2
	v_mul_lo_u32 v4, v115, s24
	s_delay_alu instid0(VALU_DEP_2)
	v_mul_lo_u32 v6, v114, s25
	s_load_b64 s[26:27], s[18:19], 0x0
	v_mad_co_u64_u32 v[9:10], null, v114, s24, 0
	s_load_b64 s[24:25], s[16:17], 0x0
	s_add_nc_u64 s[20:21], s[20:21], 1
	s_add_nc_u64 s[16:17], s[16:17], 8
	s_wait_alu 0xfffe
	v_cmp_ge_u64_e64 s2, s[20:21], s[10:11]
	s_add_nc_u64 s[18:19], s[18:19], 8
	s_add_nc_u64 s[22:23], s[22:23], 8
	v_add3_u32 v4, v10, v6, v4
	v_sub_co_u32 v6, vcc_lo, v7, v9
	s_wait_alu 0xfffd
	s_delay_alu instid0(VALU_DEP_2) | instskip(SKIP_2) | instid1(VALU_DEP_1)
	v_sub_co_ci_u32_e32 v4, vcc_lo, v8, v4, vcc_lo
	s_and_b32 vcc_lo, exec_lo, s2
	s_wait_kmcnt 0x0
	v_mul_lo_u32 v7, s26, v4
	v_mul_lo_u32 v8, s27, v6
	v_mad_co_u64_u32 v[1:2], null, s26, v6, v[1:2]
	v_mul_lo_u32 v4, s24, v4
	v_mul_lo_u32 v9, s25, v6
	v_mad_co_u64_u32 v[110:111], null, s24, v6, v[110:111]
	s_delay_alu instid0(VALU_DEP_4) | instskip(NEXT) | instid1(VALU_DEP_2)
	v_add3_u32 v2, v8, v2, v7
	v_add3_u32 v111, v9, v111, v4
	s_wait_alu 0xfffe
	s_cbranch_vccnz .LBB0_8
; %bb.7:                                ;   in Loop: Header=BB0_2 Depth=1
	v_dual_mov_b32 v7, v114 :: v_dual_mov_b32 v8, v115
	s_branch .LBB0_2
.LBB0_8:
	s_load_b64 s[0:1], s[0:1], 0x28
	v_mul_hi_u32 v4, 0xaaaaaaab, v3
	s_lshl_b64 s[10:11], s[10:11], 3
                                        ; implicit-def: $vgpr108
                                        ; implicit-def: $vgpr112
                                        ; implicit-def: $vgpr122
                                        ; implicit-def: $vgpr119
                                        ; implicit-def: $vgpr118
                                        ; implicit-def: $vgpr117
                                        ; implicit-def: $vgpr124
                                        ; implicit-def: $vgpr116
                                        ; implicit-def: $vgpr121
                                        ; implicit-def: $vgpr120
                                        ; implicit-def: $vgpr123
	s_delay_alu instid0(VALU_DEP_1) | instskip(NEXT) | instid1(VALU_DEP_1)
	v_lshrrev_b32_e32 v4, 3, v4
	v_mul_lo_u32 v5, v4, 12
	v_mul_hi_u32 v4, 0x33333334, v0
	s_wait_kmcnt 0x0
	v_cmp_gt_u64_e32 vcc_lo, s[0:1], v[114:115]
	v_cmp_le_u64_e64 s0, s[0:1], v[114:115]
	s_delay_alu instid0(VALU_DEP_4) | instskip(NEXT) | instid1(VALU_DEP_2)
	v_sub_nc_u32_e32 v3, v3, v5
	s_and_saveexec_b32 s1, s0
	s_wait_alu 0xfffe
	s_xor_b32 s0, exec_lo, s1
	s_cbranch_execz .LBB0_10
; %bb.9:
	v_mul_u32_u24_e32 v1, 5, v4
                                        ; implicit-def: $vgpr4
	s_delay_alu instid0(VALU_DEP_1) | instskip(NEXT) | instid1(VALU_DEP_1)
	v_sub_nc_u32_e32 v108, v0, v1
                                        ; implicit-def: $vgpr0
                                        ; implicit-def: $vgpr1_vgpr2
	v_add_nc_u32_e32 v112, 5, v108
	v_add_nc_u32_e32 v122, 10, v108
	;; [unrolled: 1-line block ×4, first 2 shown]
	v_or_b32_e32 v117, 40, v108
	v_add_nc_u32_e32 v124, 15, v108
	v_add_nc_u32_e32 v116, 45, v108
	;; [unrolled: 1-line block ×4, first 2 shown]
	v_or_b32_e32 v123, 0x50, v108
.LBB0_10:
	s_wait_alu 0xfffe
	s_or_saveexec_b32 s1, s0
	v_mul_u32_u24_e32 v3, 0x97, v3
	s_add_nc_u64 s[2:3], s[14:15], s[10:11]
	s_delay_alu instid0(VALU_DEP_1)
	v_lshlrev_b32_e32 v3, 4, v3
	s_wait_alu 0xfffe
	s_xor_b32 exec_lo, exec_lo, s1
	s_cbranch_execz .LBB0_12
; %bb.11:
	s_add_nc_u64 s[10:11], s[12:13], s[10:11]
	v_lshlrev_b64_e32 v[1:2], 4, v[1:2]
	s_load_b64 s[10:11], s[10:11], 0x0
	s_wait_kmcnt 0x0
	v_mul_lo_u32 v7, s11, v114
	v_mul_lo_u32 v8, s10, v115
	v_mad_co_u64_u32 v[5:6], null, s10, v114, 0
	s_delay_alu instid0(VALU_DEP_1) | instskip(SKIP_1) | instid1(VALU_DEP_2)
	v_add3_u32 v6, v6, v8, v7
	v_mul_u32_u24_e32 v7, 5, v4
	v_lshlrev_b64_e32 v[4:5], 4, v[5:6]
	s_delay_alu instid0(VALU_DEP_2) | instskip(NEXT) | instid1(VALU_DEP_1)
	v_sub_nc_u32_e32 v108, v0, v7
	v_lshlrev_b32_e32 v109, 4, v108
	s_delay_alu instid0(VALU_DEP_3) | instskip(SKIP_1) | instid1(VALU_DEP_4)
	v_add_co_u32 v0, s0, s4, v4
	s_wait_alu 0xf1ff
	v_add_co_ci_u32_e64 v4, s0, s5, v5, s0
	v_add_nc_u32_e32 v112, 5, v108
	s_delay_alu instid0(VALU_DEP_3) | instskip(SKIP_1) | instid1(VALU_DEP_3)
	v_add_co_u32 v0, s0, v0, v1
	s_wait_alu 0xf1ff
	v_add_co_ci_u32_e64 v1, s0, v4, v2, s0
	v_add_nc_u32_e32 v122, 10, v108
	s_delay_alu instid0(VALU_DEP_3) | instskip(SKIP_1) | instid1(VALU_DEP_3)
	v_add_co_u32 v0, s0, v0, v109
	s_wait_alu 0xf1ff
	v_add_co_ci_u32_e64 v1, s0, 0, v1, s0
	s_clause 0x1d
	global_load_b128 v[4:7], v[0:1], off
	global_load_b128 v[8:11], v[0:1], off offset:80
	global_load_b128 v[12:15], v[0:1], off offset:160
	;; [unrolled: 1-line block ×29, first 2 shown]
	v_add_nc_u32_e32 v124, 15, v108
	v_add_nc_u32_e32 v121, 20, v108
	;; [unrolled: 1-line block ×4, first 2 shown]
	v_add3_u32 v0, 0, v3, v109
	v_add_nc_u32_e32 v118, 35, v108
	v_or_b32_e32 v117, 40, v108
	v_add_nc_u32_e32 v116, 45, v108
	v_or_b32_e32 v123, 0x50, v108
	s_wait_loadcnt 0x1d
	ds_store_b128 v0, v[4:7]
	s_wait_loadcnt 0x1c
	ds_store_b128 v0, v[8:11] offset:80
	s_wait_loadcnt 0x1b
	ds_store_b128 v0, v[12:15] offset:160
	;; [unrolled: 2-line block ×29, first 2 shown]
.LBB0_12:
	s_or_b32 exec_lo, exec_lo, s1
	v_lshlrev_b32_e32 v109, 4, v108
	s_load_b64 s[2:3], s[2:3], 0x0
	global_wb scope:SCOPE_SE
	s_wait_dscnt 0x0
	s_wait_kmcnt 0x0
	s_barrier_signal -1
	s_barrier_wait -1
	v_add3_u32 v113, 0, v109, v3
	global_inv scope:SCOPE_SE
	v_add_nc_u32_e32 v217, 0, v3
	s_mov_b32 s14, 0x134454ff
	s_mov_b32 s15, 0xbfee6f0e
	ds_load_b128 v[68:71], v113 offset:1680
	ds_load_b128 v[72:75], v113 offset:1200
	;; [unrolled: 1-line block ×9, first 2 shown]
	v_add_nc_u32_e32 v218, v217, v109
	ds_load_b128 v[96:99], v218
	ds_load_b128 v[44:47], v113 offset:80
	ds_load_b128 v[153:156], v113 offset:480
	;; [unrolled: 1-line block ×10, first 2 shown]
	s_mov_b32 s17, 0x3fee6f0e
	s_mov_b32 s16, s14
	ds_load_b128 v[84:87], v113 offset:320
	ds_load_b128 v[40:43], v113 offset:400
	s_mov_b32 s10, 0x4755a5e
	s_mov_b32 s11, 0xbfe2cf23
	;; [unrolled: 1-line block ×3, first 2 shown]
	s_wait_alu 0xfffe
	s_mov_b32 s12, s10
	s_wait_dscnt 0x14
	v_add_f64_e32 v[16:17], v[74:75], v[70:71]
	v_add_f64_e32 v[18:19], v[72:73], v[68:69]
	s_wait_dscnt 0x12
	v_add_f64_e32 v[20:21], v[171:172], v[54:55]
	v_add_f64_e64 v[161:162], v[169:170], -v[52:53]
	v_add_f64_e32 v[159:160], v[169:170], v[52:53]
	v_add_f64_e64 v[163:164], v[72:73], -v[68:69]
	v_add_f64_e64 v[149:150], v[171:172], -v[54:55]
	s_wait_dscnt 0xa
	v_add_f64_e32 v[181:182], v[98:99], v[155:156]
	s_wait_dscnt 0x6
	v_add_f64_e32 v[177:178], v[106:107], v[82:83]
	v_add_f64_e64 v[141:142], v[155:156], -v[106:107]
	s_wait_dscnt 0x4
	v_add_f64_e64 v[127:128], v[155:156], -v[62:63]
	v_add_f64_e32 v[175:176], v[153:154], v[60:61]
	v_add_f64_e64 v[135:136], v[106:107], -v[155:156]
	v_add_f64_e32 v[187:188], v[155:156], v[62:63]
	v_add_f64_e32 v[167:168], v[207:208], v[169:170]
	v_add_f64_e64 v[155:156], v[74:75], -v[70:71]
	v_add_f64_e64 v[191:192], v[171:172], -v[74:75]
	;; [unrolled: 1-line block ×7, first 2 shown]
	v_add_f64_e32 v[179:180], v[96:97], v[153:154]
	v_add_f64_e32 v[173:174], v[104:105], v[80:81]
	v_add_f64_e64 v[125:126], v[106:107], -v[82:83]
	v_add_f64_e64 v[129:130], v[104:105], -v[80:81]
	v_add_f64_e64 v[131:132], v[153:154], -v[60:61]
	v_add_f64_e32 v[183:184], v[209:210], v[171:172]
	v_add_f64_e64 v[169:170], v[72:73], -v[169:170]
	v_add_f64_e64 v[171:172], v[68:69], -v[52:53]
	v_add_f64_e32 v[220:221], v[44:45], v[100:101]
	v_add_f64_e32 v[222:223], v[46:47], v[102:103]
	s_mov_b32 s4, 0x372fe950
	s_mov_b32 s5, 0x3fd3c6ef
	v_add_f64_e64 v[143:144], v[153:154], -v[104:105]
	v_add_f64_e64 v[133:134], v[104:105], -v[153:154]
	v_add_f64_e64 v[137:138], v[80:81], -v[60:61]
	v_add_f64_e64 v[147:148], v[62:63], -v[82:83]
	v_fma_f64 v[151:152], v[16:17], -0.5, v[209:210]
	v_fma_f64 v[157:158], v[18:19], -0.5, v[207:208]
	;; [unrolled: 1-line block ×3, first 2 shown]
	ds_load_b128 v[92:95], v113 offset:800
	ds_load_b128 v[36:39], v113 offset:880
	;; [unrolled: 1-line block ×8, first 2 shown]
	v_fma_f64 v[185:186], v[159:160], -0.5, v[207:208]
	v_add_f64_e64 v[139:140], v[82:83], -v[62:63]
	v_add_f64_e32 v[213:214], v[88:89], v[64:65]
	v_add_f64_e64 v[209:210], v[100:101], -v[88:89]
	v_fma_f64 v[177:178], v[177:178], -0.5, v[98:99]
	v_add_f64_e32 v[181:182], v[181:182], v[106:107]
	s_mov_b32 s19, 0xbfd3c6ef
	v_fma_f64 v[175:176], v[175:176], -0.5, v[96:97]
	s_wait_alu 0xfffe
	s_mov_b32 s18, s4
	v_fma_f64 v[187:188], v[187:188], -0.5, v[98:99]
	v_add_f64_e32 v[167:168], v[167:168], v[72:73]
	v_add_f64_e64 v[145:146], v[60:61], -v[80:81]
	v_add_f64_e32 v[215:216], v[90:91], v[66:67]
	v_add_f64_e32 v[191:192], v[191:192], v[201:202]
	v_add_f64_e64 v[211:212], v[102:103], -v[90:91]
	v_add_f64_e32 v[189:190], v[189:190], v[197:198]
	s_wait_dscnt 0x3
	v_add_f64_e32 v[226:227], v[76:77], v[56:57]
	v_add_f64_e32 v[228:229], v[78:79], v[58:59]
	s_wait_dscnt 0x1
	v_add_f64_e32 v[230:231], v[92:93], v[20:21]
	v_add_f64_e32 v[193:194], v[193:194], v[205:206]
	;; [unrolled: 1-line block ×4, first 2 shown]
	v_fma_f64 v[173:174], v[173:174], -0.5, v[96:97]
	v_add_f64_e64 v[96:97], v[88:89], -v[64:65]
	v_add_f64_e32 v[205:206], v[86:87], v[94:95]
	v_add_f64_e32 v[183:184], v[183:184], v[74:75]
	v_add_f64_e64 v[104:105], v[76:77], -v[92:93]
	v_add_f64_e32 v[220:221], v[220:221], v[88:89]
	v_add_f64_e32 v[222:223], v[222:223], v[90:91]
	v_add_f64_e64 v[72:73], v[94:95], -v[22:23]
	v_add_f64_e64 v[159:160], v[90:91], -v[102:103]
	v_add_f64_e32 v[106:107], v[100:101], v[48:49]
	v_add_f64_e32 v[133:134], v[133:134], v[137:138]
	;; [unrolled: 1-line block ×3, first 2 shown]
	v_fma_f64 v[199:200], v[161:162], s[16:17], v[151:152]
	v_fma_f64 v[195:196], v[149:150], s[14:15], v[157:158]
	;; [unrolled: 1-line block ×7, first 2 shown]
	v_add_f64_e64 v[165:166], v[88:89], -v[100:101]
	v_fma_f64 v[234:235], v[149:150], s[16:17], v[157:158]
	v_add_f64_e64 v[157:158], v[78:79], -v[94:95]
	v_add_f64_e64 v[88:89], v[92:93], -v[20:21]
	;; [unrolled: 1-line block ×4, first 2 shown]
	v_add_f64_e32 v[147:148], v[28:29], v[24:25]
	v_add_f64_e32 v[167:168], v[167:168], v[68:69]
	;; [unrolled: 1-line block ×4, first 2 shown]
	s_wait_dscnt 0x0
	v_add_f64_e32 v[139:140], v[38:39], v[18:19]
	s_mov_b32 s0, 0x9b97f4a8
	s_mov_b32 s1, 0x3fe9e377
	s_mov_b32 s21, 0xbfe9e377
	s_wait_alu 0xfffe
	s_mov_b32 s20, s0
	v_add_f64_e64 v[153:154], v[102:103], -v[50:51]
	v_add_f64_e32 v[143:144], v[143:144], v[145:146]
	v_fma_f64 v[213:214], v[213:214], -0.5, v[44:45]
	v_add_f64_e32 v[102:103], v[102:103], v[50:51]
	v_add_f64_e64 v[98:99], v[100:101], -v[48:49]
	v_add_f64_e64 v[100:101], v[48:49], -v[64:65]
	;; [unrolled: 1-line block ×3, first 2 shown]
	v_add_f64_e32 v[183:184], v[183:184], v[70:71]
	v_add_f64_e32 v[68:69], v[8:9], v[4:5]
	;; [unrolled: 1-line block ×4, first 2 shown]
	v_fma_f64 v[215:216], v[215:216], -0.5, v[46:47]
	v_mul_u32_u24_e32 v219, 10, v108
	v_fma_f64 v[44:45], v[106:107], -0.5, v[44:45]
	global_wb scope:SCOPE_SE
	s_barrier_signal -1
	v_fma_f64 v[199:200], v[163:164], s[12:13], v[199:200]
	v_fma_f64 v[195:196], v[155:156], s[10:11], v[195:196]
	;; [unrolled: 1-line block ×4, first 2 shown]
	v_add_f64_e32 v[203:204], v[84:85], v[92:93]
	v_add_f64_e64 v[207:208], v[92:93], -v[76:77]
	v_fma_f64 v[163:164], v[163:164], s[10:11], v[224:225]
	v_add_f64_e64 v[224:225], v[94:95], -v[78:79]
	v_add_f64_e32 v[94:95], v[169:170], v[171:172]
	v_fma_f64 v[169:170], v[228:229], -0.5, v[86:87]
	v_fma_f64 v[92:93], v[226:227], -0.5, v[84:85]
	;; [unrolled: 1-line block ×3, first 2 shown]
	v_fma_f64 v[226:227], v[131:132], s[16:17], v[177:178]
	v_fma_f64 v[228:229], v[125:126], s[16:17], v[175:176]
	;; [unrolled: 1-line block ×8, first 2 shown]
	v_add_f64_e32 v[171:172], v[179:180], v[80:81]
	v_add_f64_e32 v[179:180], v[181:182], v[82:83]
	v_fma_f64 v[181:182], v[127:128], s[14:15], v[173:174]
	v_fma_f64 v[173:174], v[127:128], s[16:17], v[173:174]
	v_add_f64_e64 v[82:83], v[66:67], -v[50:51]
	v_fma_f64 v[155:156], v[155:156], s[12:13], v[234:235]
	v_add_f64_e32 v[66:67], v[222:223], v[66:67]
	v_add_f64_e64 v[80:81], v[78:79], -v[58:59]
	v_fma_f64 v[86:87], v[232:233], -0.5, v[86:87]
	v_add_f64_e32 v[52:53], v[167:168], v[52:53]
	v_add_f64_e32 v[54:55], v[183:184], v[54:55]
	v_add_f64_e64 v[167:168], v[36:37], -v[16:17]
	v_fma_f64 v[183:184], v[137:138], -0.5, v[42:43]
	v_fma_f64 v[147:148], v[147:148], -0.5, v[40:41]
	;; [unrolled: 1-line block ×3, first 2 shown]
	v_add_f64_e32 v[238:239], v[64:65], v[48:49]
	v_fma_f64 v[68:69], v[68:69], -0.5, v[32:33]
	v_fma_f64 v[70:71], v[70:71], -0.5, v[34:35]
	v_fma_f64 v[199:200], v[191:192], s[4:5], v[199:200]
	v_fma_f64 v[195:196], v[189:190], s[4:5], v[195:196]
	;; [unrolled: 1-line block ×4, first 2 shown]
	v_add_f64_e32 v[193:194], v[203:204], v[76:77]
	v_add_f64_e64 v[203:204], v[20:21], -v[56:57]
	v_fma_f64 v[163:164], v[191:192], s[4:5], v[163:164]
	v_add_f64_e64 v[191:192], v[22:23], -v[58:59]
	v_add_f64_e32 v[201:202], v[205:206], v[78:79]
	v_add_f64_e64 v[205:206], v[58:59], -v[22:23]
	v_add_f64_e64 v[76:77], v[76:77], -v[56:57]
	;; [unrolled: 1-line block ×3, first 2 shown]
	v_fma_f64 v[145:146], v[88:89], s[16:17], v[169:170]
	v_fma_f64 v[222:223], v[127:128], s[10:11], v[228:229]
	v_fma_f64 v[228:229], v[131:132], s[12:13], v[230:231]
	v_fma_f64 v[127:128], v[127:128], s[12:13], v[175:176]
	v_fma_f64 v[175:176], v[129:130], s[12:13], v[226:227]
	v_fma_f64 v[131:132], v[131:132], s[10:11], v[187:188]
	v_fma_f64 v[129:130], v[129:130], s[10:11], v[177:178]
	v_fma_f64 v[177:178], v[94:95], s[4:5], v[197:198]
	v_fma_f64 v[94:95], v[94:95], s[4:5], v[149:150]
	v_add_f64_e32 v[60:61], v[171:172], v[60:61]
	v_fma_f64 v[181:182], v[125:126], s[10:11], v[181:182]
	v_fma_f64 v[125:126], v[125:126], s[12:13], v[173:174]
	v_fma_f64 v[230:231], v[139:140], -0.5, v[42:43]
	v_fma_f64 v[155:156], v[189:190], s[4:5], v[155:156]
	v_add_f64_e64 v[189:190], v[28:29], -v[24:25]
	v_fma_f64 v[220:221], v[72:73], s[14:15], v[92:93]
	v_add_f64_e32 v[197:198], v[12:13], v[0:1]
	v_add_f64_e32 v[62:63], v[179:180], v[62:63]
	v_add_f64_e64 v[179:180], v[30:31], -v[26:27]
	v_fma_f64 v[169:170], v[88:89], s[14:15], v[169:170]
	v_fma_f64 v[232:233], v[167:168], s[16:17], v[183:184]
	v_add_f64_e32 v[240:241], v[66:67], v[50:51]
	v_fma_f64 v[92:93], v[72:73], s[16:17], v[92:93]
	v_add_f64_e32 v[74:75], v[165:166], v[74:75]
	v_add_f64_e32 v[82:83], v[159:160], v[82:83]
	v_fma_f64 v[159:160], v[151:152], s[16:17], v[44:45]
	v_mul_f64_e32 v[226:227], s[10:11], v[199:200]
	v_mul_f64_e32 v[173:174], s[12:13], v[195:196]
	;; [unrolled: 1-line block ×7, first 2 shown]
	s_wait_alu 0xfffe
	v_mul_f64_e32 v[163:164], s[20:21], v[163:164]
	v_add_f64_e32 v[203:204], v[207:208], v[203:204]
	v_add_f64_e32 v[207:208], v[36:37], v[16:17]
	v_add_f64_e32 v[191:192], v[224:225], v[191:192]
	v_add_f64_e64 v[224:225], v[38:39], -v[18:19]
	v_add_f64_e32 v[106:107], v[157:158], v[205:206]
	v_fma_f64 v[139:140], v[133:134], s[4:5], v[222:223]
	v_fma_f64 v[157:158], v[80:81], s[16:17], v[84:85]
	;; [unrolled: 1-line block ×4, first 2 shown]
	v_add_f64_e64 v[222:223], v[36:37], -v[28:29]
	v_fma_f64 v[175:176], v[141:142], s[4:5], v[175:176]
	v_fma_f64 v[86:87], v[76:77], s[16:17], v[86:87]
	v_add_f64_e32 v[78:79], v[104:105], v[78:79]
	v_fma_f64 v[145:146], v[76:77], s[12:13], v[145:146]
	v_fma_f64 v[181:182], v[143:144], s[4:5], v[181:182]
	;; [unrolled: 1-line block ×3, first 2 shown]
	v_add_f64_e32 v[193:194], v[193:194], v[56:57]
	v_add_f64_e32 v[201:202], v[201:202], v[58:59]
	v_fma_f64 v[236:237], v[189:190], s[14:15], v[230:231]
	v_fma_f64 v[102:103], v[189:190], s[16:17], v[230:231]
	;; [unrolled: 1-line block ×3, first 2 shown]
	v_add_f64_e32 v[48:49], v[60:61], v[52:53]
	v_add_f64_e32 v[50:51], v[62:63], v[54:55]
	v_add_f64_e64 v[52:53], v[60:61], -v[52:53]
	v_add_f64_e64 v[54:55], v[62:63], -v[54:55]
	v_fma_f64 v[84:85], v[80:81], s[14:15], v[84:85]
	v_fma_f64 v[76:77], v[76:77], s[10:11], v[169:170]
	v_add_f64_e32 v[100:101], v[209:210], v[100:101]
	v_fma_f64 v[44:45], v[151:152], s[14:15], v[44:45]
	v_add_f64_e32 v[90:91], v[211:212], v[90:91]
	v_fma_f64 v[127:128], v[195:196], s[0:1], v[226:227]
	v_fma_f64 v[226:227], v[135:136], s[4:5], v[228:229]
	;; [unrolled: 1-line block ×5, first 2 shown]
	v_add_f64_e64 v[195:196], v[38:39], -v[30:31]
	v_fma_f64 v[173:174], v[199:200], s[0:1], v[173:174]
	v_add_f64_e64 v[199:200], v[30:31], -v[38:39]
	v_fma_f64 v[187:188], v[177:178], s[4:5], v[187:188]
	v_fma_f64 v[177:178], v[177:178], s[16:17], v[185:186]
	v_add_f64_e64 v[185:186], v[16:17], -v[24:25]
	v_fma_f64 v[161:162], v[141:142], s[4:5], v[129:130]
	v_fma_f64 v[141:142], v[155:156], s[20:21], v[171:172]
	;; [unrolled: 1-line block ×3, first 2 shown]
	v_add_f64_e64 v[163:164], v[18:19], -v[26:27]
	v_add_f64_e64 v[171:172], v[26:27], -v[18:19]
	v_fma_f64 v[205:206], v[207:208], -0.5, v[40:41]
	v_fma_f64 v[207:208], v[153:154], s[14:15], v[213:214]
	v_fma_f64 v[234:235], v[224:225], s[14:15], v[147:148]
	;; [unrolled: 1-line block ×6, first 2 shown]
	v_add_f64_e32 v[88:89], v[32:33], v[12:13]
	v_add_f64_e32 v[40:41], v[40:41], v[36:37]
	;; [unrolled: 1-line block ×3, first 2 shown]
	v_add_f64_e64 v[42:43], v[14:15], -v[2:3]
	v_add_f64_e64 v[36:37], v[28:29], -v[36:37]
	v_fma_f64 v[183:184], v[189:190], s[12:13], v[232:233]
	v_fma_f64 v[32:33], v[197:198], -0.5, v[32:33]
	v_fma_f64 v[102:103], v[167:168], s[10:11], v[102:103]
	v_fma_f64 v[147:148], v[224:225], s[16:17], v[147:148]
	;; [unrolled: 1-line block ×7, first 2 shown]
	v_add_f64_e64 v[197:198], v[6:7], -v[2:3]
	v_add_f64_e32 v[56:57], v[181:182], v[127:128]
	v_add_f64_e64 v[60:61], v[181:182], -v[127:128]
	v_add_f64_e64 v[181:182], v[12:13], -v[0:1]
	v_add_f64_e32 v[129:130], v[133:134], v[149:150]
	v_add_f64_e32 v[131:132], v[135:136], v[94:95]
	v_add_f64_e64 v[135:136], v[135:136], -v[94:95]
	v_add_f64_e32 v[94:95], v[14:15], v[2:3]
	v_add_f64_e32 v[58:59], v[175:176], v[173:174]
	;; [unrolled: 3-line block ×3, first 2 shown]
	v_add_f64_e64 v[125:126], v[139:140], -v[187:188]
	v_add_f64_e64 v[127:128], v[226:227], -v[177:178]
	v_add_f64_e32 v[137:138], v[143:144], v[141:142]
	v_add_f64_e32 v[139:140], v[161:162], v[155:156]
	v_add_f64_e64 v[141:142], v[143:144], -v[141:142]
	v_add_f64_e64 v[143:144], v[161:162], -v[155:156]
	v_fma_f64 v[161:162], v[151:152], s[10:11], v[207:208]
	v_add_f64_e32 v[173:174], v[34:35], v[14:15]
	v_add_f64_e64 v[177:178], v[10:11], -v[6:7]
	v_add_f64_e32 v[169:170], v[222:223], v[185:186]
	v_add_f64_e32 v[163:164], v[195:196], v[163:164]
	v_fma_f64 v[185:186], v[179:180], s[10:11], v[234:235]
	v_add_f64_e64 v[187:188], v[24:25], -v[16:17]
	v_add_f64_e32 v[171:172], v[199:200], v[171:172]
	v_fma_f64 v[195:196], v[179:180], s[16:17], v[205:206]
	v_fma_f64 v[199:200], v[167:168], s[12:13], v[236:237]
	v_add_f64_e64 v[207:208], v[8:9], -v[4:5]
	v_fma_f64 v[157:158], v[189:190], s[10:11], v[157:158]
	v_fma_f64 v[165:166], v[106:107], s[4:5], v[242:243]
	;; [unrolled: 1-line block ×5, first 2 shown]
	v_add_f64_e32 v[84:85], v[88:89], v[8:9]
	v_add_f64_e64 v[106:107], v[12:13], -v[8:9]
	v_add_f64_e64 v[8:9], v[8:9], -v[12:13]
	;; [unrolled: 1-line block ×3, first 2 shown]
	v_fma_f64 v[189:190], v[42:43], s[14:15], v[68:69]
	v_fma_f64 v[68:69], v[42:43], s[16:17], v[68:69]
	;; [unrolled: 1-line block ×5, first 2 shown]
	v_add_f64_e64 v[133:134], v[133:134], -v[149:150]
	v_mul_f64_e32 v[149:150], s[10:11], v[145:146]
	v_fma_f64 v[34:35], v[94:95], -0.5, v[34:35]
	v_fma_f64 v[94:95], v[78:79], s[4:5], v[104:105]
	v_fma_f64 v[104:105], v[179:180], s[14:15], v[205:206]
	v_mul_f64_e32 v[155:156], s[12:13], v[220:221]
	v_fma_f64 v[175:176], v[96:97], s[12:13], v[228:229]
	v_fma_f64 v[159:160], v[153:154], s[10:11], v[159:160]
	;; [unrolled: 1-line block ×4, first 2 shown]
	v_add_f64_e32 v[20:21], v[193:194], v[20:21]
	v_add_f64_e32 v[22:23], v[201:202], v[22:23]
	s_barrier_wait -1
	global_inv scope:SCOPE_SE
	v_add_f64_e32 v[88:89], v[173:174], v[10:11]
	v_add_f64_e64 v[10:11], v[10:11], -v[14:15]
	v_add_f64_e32 v[14:15], v[40:41], v[28:29]
	v_add_f64_e32 v[28:29], v[38:39], v[30:31]
	v_fma_f64 v[30:31], v[153:154], s[16:17], v[213:214]
	v_fma_f64 v[38:39], v[98:99], s[14:15], v[215:216]
	;; [unrolled: 1-line block ×3, first 2 shown]
	v_add_f64_e64 v[80:81], v[0:1], -v[4:5]
	v_add_f64_e64 v[92:93], v[4:5], -v[0:1]
	;; [unrolled: 1-line block ×3, first 2 shown]
	v_fma_f64 v[183:184], v[163:164], s[4:5], v[183:184]
	v_fma_f64 v[185:186], v[169:170], s[4:5], v[185:186]
	v_add_f64_e32 v[36:37], v[36:37], v[187:188]
	v_fma_f64 v[187:188], v[224:225], s[10:11], v[195:196]
	v_fma_f64 v[195:196], v[171:172], s[4:5], v[199:200]
	v_fma_f64 v[205:206], v[177:178], s[16:17], v[32:33]
	v_fma_f64 v[32:33], v[177:178], s[14:15], v[32:33]
	v_fma_f64 v[102:103], v[171:172], s[4:5], v[102:103]
	v_fma_f64 v[157:158], v[163:164], s[4:5], v[157:158]
	v_mul_f64_e32 v[199:200], s[14:15], v[165:166]
	v_mul_f64_e32 v[165:166], s[4:5], v[165:166]
	v_fma_f64 v[163:164], v[98:99], s[12:13], v[167:168]
	v_fma_f64 v[46:47], v[98:99], s[10:11], v[46:47]
	v_mul_f64_e32 v[78:79], s[14:15], v[86:87]
	v_mul_f64_e32 v[86:87], s[18:19], v[86:87]
	v_add_f64_e32 v[4:5], v[84:85], v[4:5]
	v_fma_f64 v[209:210], v[207:208], s[14:15], v[34:35]
	v_fma_f64 v[34:35], v[207:208], s[16:17], v[34:35]
	;; [unrolled: 1-line block ×11, first 2 shown]
	v_add_f64_e32 v[6:7], v[88:89], v[6:7]
	v_fma_f64 v[88:89], v[177:178], s[10:11], v[189:190]
	v_add_f64_e32 v[14:15], v[14:15], v[24:25]
	v_add_f64_e32 v[24:25], v[28:29], v[26:27]
	v_fma_f64 v[26:27], v[151:152], s[12:13], v[30:31]
	v_fma_f64 v[28:29], v[96:97], s[10:11], v[38:39]
	;; [unrolled: 1-line block ×3, first 2 shown]
	v_mul_f64_e32 v[38:39], s[10:11], v[76:77]
	v_mul_f64_e32 v[40:41], s[20:21], v[76:77]
	v_add_f64_e32 v[76:77], v[106:107], v[80:81]
	v_add_f64_e32 v[12:13], v[12:13], v[173:174]
	v_mul_f64_e32 v[80:81], s[10:11], v[183:184]
	v_mul_f64_e32 v[84:85], s[12:13], v[185:186]
	v_fma_f64 v[96:97], v[207:208], s[12:13], v[191:192]
	v_add_f64_e32 v[8:9], v[8:9], v[92:93]
	v_add_f64_e32 v[10:11], v[10:11], v[197:198]
	v_fma_f64 v[92:93], v[36:37], s[4:5], v[187:188]
	v_mul_f64_e32 v[98:99], s[14:15], v[195:196]
	v_mul_f64_e32 v[106:107], s[4:5], v[195:196]
	v_fma_f64 v[151:152], v[42:43], s[10:11], v[205:206]
	v_fma_f64 v[32:33], v[42:43], s[12:13], v[32:33]
	v_mul_f64_e32 v[42:43], s[14:15], v[102:103]
	v_mul_f64_e32 v[102:103], s[18:19], v[102:103]
	v_fma_f64 v[167:168], v[94:95], s[4:5], v[199:200]
	v_fma_f64 v[94:95], v[94:95], s[16:17], v[165:166]
	;; [unrolled: 1-line block ×7, first 2 shown]
	v_mul_f64_e32 v[147:148], s[10:11], v[157:158]
	v_mul_f64_e32 v[157:158], s[20:21], v[157:158]
	v_fma_f64 v[46:47], v[82:83], s[4:5], v[46:47]
	v_fma_f64 v[74:75], v[72:73], s[18:19], v[78:79]
	;; [unrolled: 1-line block ×3, first 2 shown]
	v_add_f64_e32 v[78:79], v[4:5], v[0:1]
	v_add_f64_e32 v[0:1], v[238:239], v[20:21]
	v_add_f64_e64 v[4:5], v[238:239], -v[20:21]
	v_add_f64_e32 v[82:83], v[6:7], v[2:3]
	v_add_f64_e32 v[2:3], v[240:241], v[22:23]
	;; [unrolled: 1-line block ×4, first 2 shown]
	v_fma_f64 v[100:101], v[100:101], s[4:5], v[26:27]
	v_fma_f64 v[90:91], v[90:91], s[4:5], v[28:29]
	v_add_f64_e64 v[14:15], v[161:162], -v[145:146]
	v_fma_f64 v[38:39], v[30:31], s[20:21], v[38:39]
	v_fma_f64 v[40:41], v[30:31], s[12:13], v[40:41]
	;; [unrolled: 1-line block ×8, first 2 shown]
	v_add_f64_e64 v[12:13], v[155:156], -v[149:150]
	v_add_f64_e64 v[6:7], v[240:241], -v[22:23]
	v_fma_f64 v[98:99], v[92:93], s[4:5], v[98:99]
	v_fma_f64 v[106:107], v[92:93], s[16:17], v[106:107]
	;; [unrolled: 1-line block ×4, first 2 shown]
	v_add_f64_e32 v[8:9], v[155:156], v[149:150]
	v_add_f64_e32 v[16:17], v[159:160], v[167:168]
	v_add_f64_e64 v[20:21], v[159:160], -v[167:168]
	v_add_f64_e32 v[18:19], v[163:164], v[94:95]
	v_fma_f64 v[153:154], v[10:11], s[4:5], v[153:154]
	v_fma_f64 v[171:172], v[10:11], s[4:5], v[34:35]
	;; [unrolled: 1-line block ×6, first 2 shown]
	v_add_f64_e32 v[10:11], v[161:162], v[145:146]
	v_add_f64_e32 v[24:25], v[44:45], v[74:75]
	;; [unrolled: 1-line block ×3, first 2 shown]
	v_add_f64_e64 v[28:29], v[44:45], -v[74:75]
	v_add_f64_e64 v[30:31], v[46:47], -v[72:73]
	;; [unrolled: 1-line block ×3, first 2 shown]
	v_lshl_add_u32 v157, v219, 4, v217
	ds_store_b128 v157, v[48:51]
	ds_store_b128 v157, v[56:59] offset:16
	v_add_f64_e64 v[44:45], v[78:79], -v[86:87]
	v_add_f64_e32 v[32:33], v[100:101], v[38:39]
	v_add_f64_e32 v[34:35], v[90:91], v[40:41]
	v_add_f64_e64 v[36:37], v[100:101], -v[38:39]
	v_add_f64_e64 v[38:39], v[90:91], -v[40:41]
	v_add_f64_e32 v[40:41], v[78:79], v[86:87]
	v_add_f64_e64 v[72:73], v[88:89], -v[80:81]
	v_add_f64_e64 v[74:75], v[96:97], -v[84:85]
	v_add_f64_e32 v[42:43], v[82:83], v[165:166]
	v_add_f64_e64 v[46:47], v[82:83], -v[165:166]
	v_add_f64_e32 v[68:69], v[88:89], v[80:81]
	v_mov_b32_e32 v88, 0
	v_add_f64_e32 v[70:71], v[96:97], v[84:85]
	v_add_f64_e32 v[76:77], v[151:152], v[98:99]
	v_add_f64_e64 v[93:94], v[151:152], -v[98:99]
	v_mul_i32_i24_e32 v48, 10, v112
	ds_store_b128 v157, v[64:67] offset:32
	ds_store_b128 v157, v[129:132] offset:48
	;; [unrolled: 1-line block ×4, first 2 shown]
	v_lshlrev_b32_e32 v87, 2, v108
	v_lshl_add_u32 v129, v112, 4, v217
	v_add_f64_e32 v[78:79], v[153:154], v[106:107]
	v_add_f64_e64 v[95:96], v[153:154], -v[106:107]
	v_add_f64_e32 v[80:81], v[169:170], v[173:174]
	v_add_f64_e32 v[82:83], v[171:172], v[102:103]
	;; [unrolled: 1-line block ×4, first 2 shown]
	v_add_f64_e64 v[97:98], v[169:170], -v[173:174]
	v_add_f64_e64 v[99:100], v[171:172], -v[102:103]
	;; [unrolled: 1-line block ×4, first 2 shown]
	v_lshl_add_u32 v49, v48, 4, v217
	ds_store_b128 v157, v[60:63] offset:96
	ds_store_b128 v157, v[125:128] offset:112
	;; [unrolled: 1-line block ×4, first 2 shown]
	ds_store_b128 v49, v[0:3]
	ds_store_b128 v49, v[8:11] offset:16
	v_mul_i32_i24_e32 v0, 10, v122
	ds_store_b128 v49, v[16:19] offset:32
	ds_store_b128 v49, v[24:27] offset:48
	;; [unrolled: 1-line block ×4, first 2 shown]
	v_lshl_add_u32 v48, v0, 4, v217
	v_lshlrev_b64_e32 v[0:1], 4, v[87:88]
	v_lshlrev_b32_e32 v87, 2, v112
	ds_store_b128 v49, v[12:15] offset:96
	ds_store_b128 v49, v[20:23] offset:112
	;; [unrolled: 1-line block ×4, first 2 shown]
	ds_store_b128 v48, v[40:43]
	ds_store_b128 v48, v[68:71] offset:16
	v_add_co_u32 v8, s0, s8, v0
	s_wait_alu 0xf1ff
	v_add_co_ci_u32_e64 v9, s0, s9, v1, s0
	v_lshlrev_b64_e32 v[16:17], 4, v[87:88]
	v_and_b32_e32 v31, 0xff, v120
	v_lshl_add_u32 v126, v119, 4, v217
	v_lshl_add_u32 v106, v117, 4, v217
	ds_store_b128 v48, v[76:79] offset:32
	ds_store_b128 v48, v[80:83] offset:48
	;; [unrolled: 1-line block ×8, first 2 shown]
	global_wb scope:SCOPE_SE
	s_wait_dscnt 0x0
	s_barrier_signal -1
	s_barrier_wait -1
	global_inv scope:SCOPE_SE
	s_clause 0x1
	global_load_b128 v[4:7], v[8:9], off
	global_load_b128 v[0:3], v[8:9], off offset:16
	v_add_co_u32 v28, s0, s8, v16
	v_and_b32_e32 v16, 0xff, v121
	s_wait_alu 0xf1ff
	v_add_co_ci_u32_e64 v29, s0, s9, v17, s0
	global_load_b128 v[12:15], v[8:9], off offset:32
	v_mul_lo_u16 v33, 0xcd, v31
	v_mul_lo_u16 v24, 0xcd, v16
	s_clause 0x2
	global_load_b128 v[20:23], v[28:29], off
	global_load_b128 v[8:11], v[8:9], off offset:48
	global_load_b128 v[16:19], v[28:29], off offset:16
	v_lshrrev_b16 v33, 11, v33
	v_lshrrev_b16 v30, 11, v24
	global_load_b128 v[24:27], v[28:29], off offset:32
	v_mad_i32_i24 v125, 0xffffff70, v122, v48
	v_lshl_add_u32 v107, v118, 4, v217
	v_lshl_add_u32 v105, v116, 4, v217
	v_mul_lo_u16 v32, v30, 10
	global_load_b128 v[28:31], v[28:29], off offset:48
	v_lshl_add_u32 v127, v124, 4, v217
	v_lshl_add_u32 v128, v121, 4, v217
	v_sub_nc_u16 v32, v121, v32
	s_delay_alu instid0(VALU_DEP_1) | instskip(SKIP_1) | instid1(VALU_DEP_2)
	v_and_b32_e32 v102, 0xff, v32
	v_mul_lo_u16 v32, v33, 10
	v_lshlrev_b32_e32 v33, 6, v102
	s_delay_alu instid0(VALU_DEP_2)
	v_sub_nc_u16 v32, v120, v32
	s_clause 0x1
	global_load_b128 v[44:47], v33, s[8:9]
	global_load_b128 v[40:43], v33, s[8:9] offset:16
	v_and_b32_e32 v101, 0xff, v32
	global_load_b128 v[36:39], v33, s[8:9] offset:32
	v_lshlrev_b32_e32 v49, 6, v101
	s_clause 0x4
	global_load_b128 v[32:35], v33, s[8:9] offset:48
	global_load_b128 v[52:55], v49, s[8:9]
	global_load_b128 v[56:59], v49, s[8:9] offset:16
	global_load_b128 v[60:63], v49, s[8:9] offset:32
	;; [unrolled: 1-line block ×3, first 2 shown]
	ds_load_b128 v[80:83], v126
	ds_load_b128 v[76:79], v106
	ds_load_b128 v[72:75], v113 offset:960
	ds_load_b128 v[68:71], v113 offset:1120
	;; [unrolled: 1-line block ×5, first 2 shown]
	ds_load_b128 v[84:87], v125
	ds_load_b128 v[134:137], v113 offset:1920
	ds_load_b128 v[138:141], v113 offset:880
	;; [unrolled: 1-line block ×5, first 2 shown]
	ds_load_b128 v[154:157], v107
	ds_load_b128 v[158:161], v105
	ds_load_b128 v[162:165], v113 offset:1520
	ds_load_b128 v[166:169], v113 offset:1840
	;; [unrolled: 1-line block ×8, first 2 shown]
	ds_load_b128 v[194:197], v129
	ds_load_b128 v[48:51], v127
	s_wait_loadcnt_dscnt 0xf18
	v_mul_f64_e32 v[93:94], v[82:83], v[6:7]
	v_mul_f64_e32 v[95:96], v[80:81], v[6:7]
	s_wait_dscnt 0x17
	v_mul_f64_e32 v[103:104], v[78:79], v[6:7]
	v_mul_f64_e32 v[6:7], v[76:77], v[6:7]
	s_wait_loadcnt_dscnt 0xe16
	v_mul_f64_e32 v[198:199], v[74:75], v[2:3]
	v_mul_f64_e32 v[200:201], v[72:73], v[2:3]
	s_wait_dscnt 0x15
	v_mul_f64_e32 v[202:203], v[70:71], v[2:3]
	v_mul_f64_e32 v[2:3], v[68:69], v[2:3]
	;; [unrolled: 6-line block ×3, first 2 shown]
	s_wait_loadcnt_dscnt 0xb10
	v_mul_f64_e32 v[210:211], v[136:137], v[10:11]
	v_mul_f64_e32 v[212:213], v[134:135], v[10:11]
	s_wait_dscnt 0xe
	v_mul_f64_e32 v[214:215], v[144:145], v[10:11]
	s_wait_dscnt 0xb
	v_mul_f64_e32 v[219:220], v[156:157], v[22:23]
	v_mul_f64_e32 v[221:222], v[154:155], v[22:23]
	s_wait_dscnt 0xa
	v_mul_f64_e32 v[227:228], v[160:161], v[22:23]
	v_mul_f64_e32 v[22:23], v[158:159], v[22:23]
	s_wait_loadcnt 0xa
	v_mul_f64_e32 v[231:232], v[148:149], v[18:19]
	v_mul_f64_e32 v[233:234], v[146:147], v[18:19]
	s_wait_loadcnt_dscnt 0x909
	v_mul_f64_e32 v[239:240], v[164:165], v[26:27]
	v_mul_f64_e32 v[241:242], v[162:163], v[26:27]
	s_wait_loadcnt_dscnt 0x803
	v_mul_f64_e32 v[243:244], v[188:189], v[30:31]
	v_mul_f64_e32 v[10:11], v[142:143], v[10:11]
	;; [unrolled: 1-line block ×3, first 2 shown]
	v_fma_f64 v[223:224], v[80:81], v[4:5], v[93:94]
	v_fma_f64 v[225:226], v[82:83], v[4:5], -v[95:96]
	v_fma_f64 v[103:104], v[76:77], v[4:5], v[103:104]
	v_fma_f64 v[229:230], v[78:79], v[4:5], -v[6:7]
	v_fma_f64 v[235:236], v[72:73], v[0:1], v[198:199]
	ds_load_b128 v[4:7], v113 offset:2160
	v_fma_f64 v[237:238], v[74:75], v[0:1], -v[200:201]
	ds_load_b128 v[198:201], v113 offset:2240
	v_fma_f64 v[76:77], v[68:69], v[0:1], v[202:203]
	v_fma_f64 v[78:79], v[70:71], v[0:1], -v[2:3]
	v_fma_f64 v[95:96], v[89:90], v[12:13], v[204:205]
	v_fma_f64 v[93:94], v[91:92], v[12:13], -v[206:207]
	;; [unrolled: 2-line block ×3, first 2 shown]
	v_mul_f64_e32 v[12:13], v[172:173], v[18:19]
	v_mul_f64_e32 v[14:15], v[170:171], v[18:19]
	;; [unrolled: 1-line block ×4, first 2 shown]
	v_fma_f64 v[80:81], v[134:135], v[8:9], v[210:211]
	v_fma_f64 v[82:83], v[136:137], v[8:9], -v[212:213]
	v_fma_f64 v[0:1], v[142:143], v[8:9], v[214:215]
	s_wait_loadcnt_dscnt 0x704
	v_mul_f64_e32 v[136:137], v[192:193], v[46:47]
	v_fma_f64 v[154:155], v[154:155], v[20:21], v[219:220]
	v_fma_f64 v[68:69], v[160:161], v[20:21], -v[22:23]
	s_wait_loadcnt 0x3
	v_mul_f64_e32 v[160:161], v[140:141], v[54:55]
	s_wait_dscnt 0x1
	v_mul_f64_e32 v[134:135], v[6:7], v[30:31]
	v_mul_f64_e32 v[30:31], v[4:5], v[30:31]
	s_wait_dscnt 0x0
	v_mul_f64_e32 v[22:23], v[200:201], v[34:35]
	v_mul_f64_e32 v[212:213], v[138:139], v[54:55]
	v_fma_f64 v[146:147], v[146:147], v[16:17], v[231:232]
	v_fma_f64 v[148:149], v[148:149], v[16:17], -v[233:234]
	s_wait_loadcnt 0x2
	v_mul_f64_e32 v[214:215], v[152:153], v[58:59]
	v_fma_f64 v[99:100], v[162:163], v[24:25], v[239:240]
	v_fma_f64 v[97:98], v[164:165], v[24:25], -v[241:242]
	v_fma_f64 v[89:90], v[186:187], v[28:29], v[243:244]
	s_wait_loadcnt 0x0
	v_mul_f64_e32 v[186:187], v[132:133], v[66:67]
	v_mul_f64_e32 v[66:67], v[130:131], v[66:67]
	v_fma_f64 v[2:3], v[144:145], v[8:9], -v[10:11]
	v_fma_f64 v[156:157], v[156:157], v[20:21], -v[221:222]
	v_mul_f64_e32 v[219:220], v[150:151], v[58:59]
	v_mul_f64_e32 v[162:163], v[168:169], v[62:63]
	;; [unrolled: 1-line block ×3, first 2 shown]
	v_fma_f64 v[91:92], v[188:189], v[28:29], -v[245:246]
	v_mul_f64_e32 v[142:143], v[190:191], v[46:47]
	v_mul_f64_e32 v[144:145], v[176:177], v[42:43]
	;; [unrolled: 1-line block ×5, first 2 shown]
	v_fma_f64 v[70:71], v[158:159], v[20:21], v[227:228]
	v_mul_f64_e32 v[158:159], v[198:199], v[34:35]
	ds_load_b128 v[202:205], v218
	v_add_f64_e64 v[221:222], v[229:230], -v[78:79]
	v_fma_f64 v[62:63], v[170:171], v[16:17], v[12:13]
	v_fma_f64 v[58:59], v[172:173], v[16:17], -v[14:15]
	v_fma_f64 v[54:55], v[178:179], v[24:25], v[18:19]
	v_fma_f64 v[46:47], v[180:181], v[24:25], -v[26:27]
	v_add_f64_e64 v[170:171], v[235:236], -v[223:224]
	v_add_f64_e64 v[172:173], v[237:238], -v[225:226]
	v_fma_f64 v[42:43], v[190:191], v[44:45], v[136:137]
	v_add_f64_e32 v[136:137], v[237:238], v[93:94]
	v_add_f64_e32 v[190:191], v[76:77], v[74:75]
	v_fma_f64 v[26:27], v[138:139], v[52:53], v[160:161]
	v_fma_f64 v[8:9], v[4:5], v[28:29], v[134:135]
	v_fma_f64 v[10:11], v[6:7], v[28:29], -v[30:31]
	v_fma_f64 v[4:5], v[198:199], v[32:33], v[22:23]
	v_add_f64_e32 v[134:135], v[235:236], v[95:96]
	v_fma_f64 v[22:23], v[140:141], v[52:53], -v[212:213]
	v_add_f64_e32 v[138:139], v[223:224], v[80:81]
	v_fma_f64 v[28:29], v[150:151], v[56:57], v[214:215]
	v_add_f64_e32 v[140:141], v[225:226], v[82:83]
	v_add_f64_e64 v[160:161], v[82:83], -v[93:94]
	v_add_f64_e32 v[150:151], v[154:155], v[89:90]
	v_fma_f64 v[12:13], v[130:131], v[64:65], v[186:187]
	v_fma_f64 v[14:15], v[132:133], v[64:65], -v[66:67]
	v_add_f64_e32 v[130:131], v[146:147], v[99:100]
	v_add_f64_e32 v[132:133], v[148:149], v[97:98]
	v_fma_f64 v[24:25], v[152:153], v[56:57], -v[219:220]
	v_fma_f64 v[16:17], v[166:167], v[60:61], v[162:163]
	v_fma_f64 v[18:19], v[168:169], v[60:61], -v[164:165]
	v_add_f64_e32 v[152:153], v[156:157], v[91:92]
	v_add_f64_e32 v[162:163], v[103:104], v[0:1]
	;; [unrolled: 1-line block ×3, first 2 shown]
	v_fma_f64 v[30:31], v[192:193], v[44:45], -v[142:143]
	v_fma_f64 v[44:45], v[174:175], v[40:41], v[144:145]
	v_fma_f64 v[20:21], v[184:185], v[36:37], -v[210:211]
	v_add_f64_e64 v[142:143], v[223:224], -v[235:236]
	v_add_f64_e64 v[144:145], v[80:81], -v[95:96]
	v_add_f64_e32 v[184:185], v[194:195], v[154:155]
	v_add_f64_e32 v[188:189], v[196:197], v[156:157]
	v_fma_f64 v[34:35], v[176:177], v[40:41], -v[206:207]
	v_fma_f64 v[38:39], v[182:183], v[36:37], v[208:209]
	v_fma_f64 v[6:7], v[200:201], v[32:33], -v[158:159]
	v_add_f64_e64 v[158:159], v[225:226], -v[237:238]
	v_add_f64_e64 v[32:33], v[225:226], -v[82:83]
	v_add_f64_e64 v[56:57], v[237:238], -v[93:94]
	v_add_f64_e64 v[36:37], v[223:224], -v[80:81]
	v_add_f64_e64 v[52:53], v[235:236], -v[95:96]
	s_wait_dscnt 0x0
	v_add_f64_e32 v[166:167], v[202:203], v[223:224]
	v_add_f64_e32 v[168:169], v[204:205], v[225:226]
	v_add_f64_e64 v[174:175], v[95:96], -v[80:81]
	v_add_f64_e64 v[40:41], v[156:157], -v[91:92]
	;; [unrolled: 1-line block ×4, first 2 shown]
	v_fma_f64 v[134:135], v[134:135], -0.5, v[202:203]
	v_fma_f64 v[136:137], v[136:137], -0.5, v[204:205]
	;; [unrolled: 1-line block ×3, first 2 shown]
	v_add_f64_e32 v[192:193], v[78:79], v[72:73]
	v_fma_f64 v[140:141], v[140:141], -0.5, v[204:205]
	v_add_f64_e64 v[176:177], v[93:94], -v[82:83]
	v_fma_f64 v[150:151], v[150:151], -0.5, v[194:195]
	v_add_f64_e64 v[178:179], v[154:155], -v[146:147]
	v_add_f64_e64 v[182:183], v[156:157], -v[148:149]
	v_fma_f64 v[130:131], v[130:131], -0.5, v[194:195]
	v_fma_f64 v[132:133], v[132:133], -0.5, v[196:197]
	v_add_f64_e64 v[66:67], v[146:147], -v[99:100]
	v_add_f64_e64 v[154:155], v[146:147], -v[154:155]
	;; [unrolled: 1-line block ×5, first 2 shown]
	v_fma_f64 v[152:153], v[152:153], -0.5, v[196:197]
	v_add_f64_e64 v[196:197], v[78:79], -v[72:73]
	v_fma_f64 v[162:163], v[162:163], -0.5, v[84:85]
	v_add_f64_e64 v[202:203], v[76:77], -v[74:75]
	v_fma_f64 v[164:165], v[164:165], -0.5, v[86:87]
	v_add_f64_e32 v[142:143], v[142:143], v[144:145]
	v_add_f64_e32 v[146:147], v[184:185], v[146:147]
	;; [unrolled: 1-line block ×3, first 2 shown]
	v_add_f64_e64 v[180:181], v[89:90], -v[99:100]
	v_add_f64_e64 v[186:187], v[91:92], -v[97:98]
	v_add_f64_e32 v[214:215], v[84:85], v[103:104]
	v_add_f64_e32 v[219:220], v[86:87], v[229:230]
	;; [unrolled: 1-line block ×3, first 2 shown]
	v_fma_f64 v[84:85], v[190:191], -0.5, v[84:85]
	v_add_f64_e64 v[194:195], v[76:77], -v[103:104]
	v_add_f64_e64 v[204:205], v[74:75], -v[0:1]
	v_add_f64_e32 v[166:167], v[166:167], v[235:236]
	v_add_f64_e32 v[168:169], v[168:169], v[237:238]
	;; [unrolled: 1-line block ×3, first 2 shown]
	v_add_f64_e64 v[206:207], v[78:79], -v[229:230]
	v_add_f64_e64 v[208:209], v[72:73], -v[2:3]
	;; [unrolled: 1-line block ×3, first 2 shown]
	v_fma_f64 v[158:159], v[32:33], s[14:15], v[134:135]
	v_fma_f64 v[134:135], v[32:33], s[16:17], v[134:135]
	;; [unrolled: 1-line block ×7, first 2 shown]
	v_fma_f64 v[86:87], v[192:193], -0.5, v[86:87]
	v_fma_f64 v[140:141], v[52:53], s[16:17], v[140:141]
	v_fma_f64 v[188:189], v[40:41], s[14:15], v[130:131]
	v_fma_f64 v[190:191], v[60:61], s[16:17], v[132:133]
	v_fma_f64 v[132:133], v[60:61], s[14:15], v[132:133]
	v_fma_f64 v[192:193], v[64:65], s[16:17], v[150:151]
	v_fma_f64 v[150:151], v[64:65], s[14:15], v[150:151]
	v_add_f64_e64 v[212:213], v[103:104], -v[0:1]
	v_fma_f64 v[130:131], v[40:41], s[16:17], v[130:131]
	v_fma_f64 v[225:226], v[66:67], s[14:15], v[152:153]
	;; [unrolled: 1-line block ×4, first 2 shown]
	v_add_f64_e32 v[172:173], v[172:173], v[176:177]
	v_fma_f64 v[176:177], v[202:203], s[14:15], v[164:165]
	v_add_f64_e32 v[154:155], v[154:155], v[198:199]
	v_add_f64_e32 v[198:199], v[62:63], v[54:55]
	;; [unrolled: 1-line block ×8, first 2 shown]
	v_fma_f64 v[162:163], v[196:197], s[14:15], v[162:163]
	v_fma_f64 v[164:165], v[202:203], s[16:17], v[164:165]
	v_add_f64_e64 v[180:181], v[2:3], -v[72:73]
	v_add_f64_e32 v[95:96], v[166:167], v[95:96]
	v_add_f64_e32 v[166:167], v[70:71], v[8:9]
	;; [unrolled: 1-line block ×3, first 2 shown]
	v_add_f64_e64 v[186:187], v[70:71], -v[62:63]
	v_add_f64_e64 v[168:169], v[8:9], -v[54:55]
	;; [unrolled: 1-line block ×3, first 2 shown]
	v_fma_f64 v[144:145], v[56:57], s[10:11], v[158:159]
	v_fma_f64 v[56:57], v[56:57], s[12:13], v[134:135]
	;; [unrolled: 1-line block ×4, first 2 shown]
	v_add_f64_e32 v[170:171], v[68:69], v[10:11]
	v_fma_f64 v[136:137], v[32:33], s[10:11], v[174:175]
	v_fma_f64 v[146:147], v[36:37], s[12:13], v[184:185]
	;; [unrolled: 1-line block ×9, first 2 shown]
	v_add_f64_e64 v[158:159], v[70:71], -v[8:9]
	v_add_f64_e32 v[174:175], v[194:195], v[204:205]
	v_fma_f64 v[184:185], v[64:65], s[12:13], v[130:131]
	v_fma_f64 v[192:193], v[60:61], s[12:13], v[225:226]
	;; [unrolled: 1-line block ×4, first 2 shown]
	v_add_f64_e32 v[152:153], v[206:207], v[208:209]
	v_fma_f64 v[176:177], v[212:213], s[12:13], v[176:177]
	v_add_f64_e32 v[194:195], v[48:49], v[70:71]
	v_add_f64_e32 v[204:205], v[44:45], v[38:39]
	;; [unrolled: 1-line block ×5, first 2 shown]
	v_fma_f64 v[198:199], v[198:199], -0.5, v[48:49]
	v_fma_f64 v[200:201], v[200:201], -0.5, v[50:51]
	v_fma_f64 v[219:220], v[210:211], s[14:15], v[84:85]
	v_fma_f64 v[225:226], v[212:213], s[16:17], v[86:87]
	;; [unrolled: 1-line block ×4, first 2 shown]
	v_add_f64_e64 v[103:104], v[103:104], -v[76:77]
	v_add_f64_e32 v[76:77], v[99:100], v[89:90]
	v_add_f64_e32 v[78:79], v[97:98], v[91:92]
	ds_load_b128 v[97:100], v128
	v_lshl_add_u32 v130, v120, 4, v217
	v_add_f64_e64 v[223:224], v[0:1], -v[74:75]
	v_fma_f64 v[166:167], v[166:167], -0.5, v[48:49]
	v_add_f64_e32 v[64:65], v[95:96], v[80:81]
	v_add_f64_e32 v[66:67], v[93:94], v[82:83]
	v_fma_f64 v[80:81], v[142:143], s[4:5], v[144:145]
	v_fma_f64 v[82:83], v[148:149], s[4:5], v[134:135]
	;; [unrolled: 1-line block ×11, first 2 shown]
	v_add_f64_e32 v[32:33], v[50:51], v[68:69]
	v_add_f64_e64 v[36:37], v[62:63], -v[54:55]
	v_fma_f64 v[40:41], v[170:171], -0.5, v[50:51]
	ds_load_b128 v[48:51], v130
	v_fma_f64 v[52:53], v[210:211], s[12:13], v[162:163]
	v_fma_f64 v[56:57], v[212:213], s[10:11], v[164:165]
	v_add_f64_e32 v[162:163], v[42:43], v[4:5]
	v_add_f64_e32 v[164:165], v[30:31], v[6:7]
	s_wait_dscnt 0x1
	v_add_f64_e32 v[182:183], v[97:98], v[42:43]
	v_add_f64_e64 v[231:232], v[58:59], -v[46:47]
	v_fma_f64 v[91:92], v[172:173], s[4:5], v[146:147]
	v_fma_f64 v[135:136], v[178:179], s[4:5], v[184:185]
	;; [unrolled: 1-line block ×7, first 2 shown]
	v_add_f64_e32 v[60:61], v[208:209], v[74:75]
	v_fma_f64 v[74:75], v[204:205], -0.5, v[97:98]
	v_add_f64_e64 v[154:155], v[30:31], -v[6:7]
	v_fma_f64 v[156:157], v[206:207], -0.5, v[99:100]
	v_add_f64_e64 v[160:161], v[42:43], -v[4:5]
	v_add_f64_e32 v[170:171], v[221:222], v[180:181]
	v_fma_f64 v[172:173], v[196:197], s[10:11], v[219:220]
	v_fma_f64 v[176:177], v[202:203], s[12:13], v[225:226]
	;; [unrolled: 1-line block ×4, first 2 shown]
	v_add_f64_e32 v[168:169], v[186:187], v[168:169]
	v_add_f64_e64 v[184:185], v[68:69], -v[58:59]
	v_add_f64_e64 v[186:187], v[10:11], -v[46:47]
	v_fma_f64 v[188:189], v[229:230], s[14:15], v[198:199]
	v_fma_f64 v[190:191], v[158:159], s[16:17], v[200:201]
	;; [unrolled: 1-line block ×4, first 2 shown]
	v_add_f64_e32 v[198:199], v[26:27], v[12:13]
	v_add_f64_e32 v[194:195], v[194:195], v[62:63]
	;; [unrolled: 1-line block ×3, first 2 shown]
	v_add_f64_e64 v[62:63], v[62:63], -v[70:71]
	v_add_f64_e32 v[70:71], v[28:29], v[16:17]
	v_add_f64_e32 v[202:203], v[24:25], v[18:19]
	;; [unrolled: 1-line block ×4, first 2 shown]
	v_add_f64_e64 v[58:59], v[58:59], -v[68:69]
	v_add_f64_e64 v[68:69], v[46:47], -v[10:11]
	v_fma_f64 v[208:209], v[36:37], s[14:15], v[40:41]
	v_fma_f64 v[40:41], v[36:37], s[16:17], v[40:41]
	v_add_f64_e64 v[223:224], v[34:35], -v[20:21]
	v_fma_f64 v[97:98], v[162:163], -0.5, v[97:98]
	v_fma_f64 v[162:163], v[164:165], -0.5, v[99:100]
	v_add_f64_e32 v[99:100], v[99:100], v[30:31]
	v_add_f64_e64 v[164:165], v[44:45], -v[38:39]
	v_add_f64_e32 v[182:183], v[182:183], v[44:45]
	v_add_f64_e32 v[72:73], v[214:215], v[72:73]
	v_add_f64_e64 v[206:207], v[54:55], -v[8:9]
	v_add_f64_e64 v[210:211], v[42:43], -v[44:45]
	;; [unrolled: 1-line block ×5, first 2 shown]
	v_fma_f64 v[221:222], v[154:155], s[14:15], v[74:75]
	v_fma_f64 v[225:226], v[160:161], s[16:17], v[156:157]
	;; [unrolled: 1-line block ×6, first 2 shown]
	v_add_f64_e64 v[227:228], v[22:23], -v[14:15]
	v_add_f64_e64 v[30:31], v[34:35], -v[30:31]
	v_add_f64_e32 v[0:1], v[60:61], v[0:1]
	v_add_f64_e32 v[184:185], v[184:185], v[186:187]
	v_fma_f64 v[186:187], v[231:232], s[10:11], v[188:189]
	v_fma_f64 v[188:189], v[36:37], s[12:13], v[190:191]
	;; [unrolled: 1-line block ×4, first 2 shown]
	s_wait_dscnt 0x0
	v_fma_f64 v[192:193], v[198:199], -0.5, v[48:49]
	v_add_f64_e64 v[196:197], v[24:25], -v[18:19]
	v_fma_f64 v[198:199], v[200:201], -0.5, v[50:51]
	v_add_f64_e64 v[200:201], v[28:29], -v[16:17]
	v_fma_f64 v[70:71], v[70:71], -0.5, v[48:49]
	v_fma_f64 v[202:203], v[202:203], -0.5, v[50:51]
	v_add_f64_e32 v[48:49], v[48:49], v[26:27]
	v_add_f64_e32 v[50:51], v[50:51], v[22:23]
	;; [unrolled: 1-line block ×3, first 2 shown]
	v_add_f64_e64 v[194:195], v[26:27], -v[12:13]
	v_add_f64_e32 v[46:47], v[32:33], v[46:47]
	v_add_f64_e32 v[58:59], v[58:59], v[68:69]
	v_fma_f64 v[68:69], v[158:159], s[12:13], v[208:209]
	v_fma_f64 v[158:159], v[158:159], s[10:11], v[40:41]
	v_add_f64_e64 v[32:33], v[44:45], -v[42:43]
	v_fma_f64 v[40:41], v[223:224], s[16:17], v[97:98]
	v_fma_f64 v[42:43], v[223:224], s[14:15], v[97:98]
	v_add_f64_e32 v[44:45], v[99:100], v[34:35]
	v_add_f64_e32 v[97:98], v[182:183], v[38:39]
	v_add_f64_e64 v[38:39], v[38:39], -v[4:5]
	v_add_f64_e64 v[34:35], v[20:21], -v[6:7]
	v_fma_f64 v[99:100], v[164:165], s[14:15], v[162:163]
	v_fma_f64 v[162:163], v[164:165], s[16:17], v[162:163]
	v_add_f64_e32 v[62:63], v[62:63], v[206:207]
	v_add_f64_e32 v[206:207], v[210:211], v[212:213]
	;; [unrolled: 1-line block ×3, first 2 shown]
	v_fma_f64 v[210:211], v[223:224], s[10:11], v[221:222]
	v_fma_f64 v[212:213], v[164:165], s[12:13], v[225:226]
	;; [unrolled: 1-line block ×3, first 2 shown]
	v_add_f64_e64 v[164:165], v[28:29], -v[26:27]
	v_add_f64_e64 v[182:183], v[16:17], -v[12:13]
	;; [unrolled: 1-line block ×4, first 2 shown]
	v_fma_f64 v[204:205], v[229:230], s[10:11], v[204:205]
	v_fma_f64 v[166:167], v[229:230], s[12:13], v[166:167]
	;; [unrolled: 1-line block ×3, first 2 shown]
	v_add_f64_e64 v[26:27], v[26:27], -v[28:29]
	v_add_f64_e64 v[225:226], v[12:13], -v[16:17]
	;; [unrolled: 1-line block ×3, first 2 shown]
	v_fma_f64 v[221:222], v[196:197], s[16:17], v[192:193]
	v_fma_f64 v[192:193], v[196:197], s[14:15], v[192:193]
	;; [unrolled: 1-line block ×4, first 2 shown]
	v_add_f64_e32 v[2:3], v[72:73], v[2:3]
	v_add_f64_e32 v[48:49], v[48:49], v[28:29]
	;; [unrolled: 1-line block ×3, first 2 shown]
	v_fma_f64 v[28:29], v[227:228], s[14:15], v[70:71]
	v_add_f64_e64 v[24:25], v[22:23], -v[24:25]
	v_fma_f64 v[231:232], v[194:195], s[16:17], v[202:203]
	v_fma_f64 v[70:71], v[227:228], s[16:17], v[70:71]
	;; [unrolled: 1-line block ×4, first 2 shown]
	v_add_f64_e32 v[8:9], v[54:55], v[8:9]
	v_fma_f64 v[233:234], v[154:155], s[10:11], v[40:41]
	v_fma_f64 v[154:155], v[154:155], s[12:13], v[42:43]
	v_add_f64_e32 v[20:21], v[44:45], v[20:21]
	v_add_f64_e32 v[10:11], v[46:47], v[10:11]
	;; [unrolled: 1-line block ×4, first 2 shown]
	v_fma_f64 v[99:100], v[160:161], s[12:13], v[99:100]
	v_fma_f64 v[160:161], v[160:161], s[10:11], v[162:163]
	;; [unrolled: 1-line block ×9, first 2 shown]
	v_add_f64_e32 v[162:163], v[164:165], v[182:183]
	v_add_f64_e32 v[4:5], v[97:98], v[4:5]
	;; [unrolled: 1-line block ×3, first 2 shown]
	v_fma_f64 v[38:39], v[62:63], s[4:5], v[204:205]
	v_fma_f64 v[42:43], v[62:63], s[4:5], v[166:167]
	;; [unrolled: 1-line block ×3, first 2 shown]
	global_wb scope:SCOPE_SE
	s_barrier_signal -1
	s_barrier_wait -1
	v_fma_f64 v[182:183], v[227:228], s[10:11], v[221:222]
	v_fma_f64 v[192:193], v[227:228], s[12:13], v[192:193]
	;; [unrolled: 1-line block ×3, first 2 shown]
	v_add_f64_e32 v[223:224], v[26:27], v[225:226]
	v_fma_f64 v[194:195], v[194:195], s[10:11], v[198:199]
	v_add_f64_e32 v[219:220], v[48:49], v[16:17]
	v_add_f64_e32 v[221:222], v[50:51], v[18:19]
	v_fma_f64 v[225:226], v[196:197], s[10:11], v[28:29]
	v_add_f64_e32 v[227:228], v[24:25], v[229:230]
	v_fma_f64 v[229:230], v[200:201], s[12:13], v[231:232]
	v_fma_f64 v[196:197], v[196:197], s[12:13], v[70:71]
	;; [unrolled: 1-line block ×13, first 2 shown]
	v_add_f64_e32 v[6:7], v[20:21], v[6:7]
	v_fma_f64 v[48:49], v[208:209], s[4:5], v[212:213]
	v_lshl_add_u32 v20, v123, 4, v217
	global_inv scope:SCOPE_SE
	ds_store_b128 v113, v[64:67]
	ds_store_b128 v113, v[80:83] offset:160
	ds_store_b128 v113, v[89:92] offset:320
	;; [unrolled: 1-line block ×4, first 2 shown]
	ds_store_b128 v129, v[76:79]
	ds_store_b128 v129, v[131:134] offset:160
	ds_store_b128 v129, v[139:142] offset:320
	;; [unrolled: 1-line block ×7, first 2 shown]
	ds_store_b128 v20, v[22:25]
	ds_store_b128 v113, v[26:29] offset:1440
	v_add_f64_e32 v[12:13], v[219:220], v[12:13]
	v_add_f64_e32 v[14:15], v[221:222], v[14:15]
	v_fma_f64 v[97:98], v[223:224], s[4:5], v[225:226]
	v_fma_f64 v[99:100], v[227:228], s[4:5], v[229:230]
	;; [unrolled: 1-line block ×8, first 2 shown]
	v_lshl_add_u32 v0, v102, 4, v217
	v_lshlrev_b32_e32 v87, 1, v108
	v_lshl_add_u32 v2, v101, 4, v217
	ds_store_b128 v129, v[8:11] offset:800
	ds_store_b128 v129, v[30:33] offset:960
	;; [unrolled: 1-line block ×11, first 2 shown]
	v_lshlrev_b64_e32 v[0:1], 4, v[87:88]
	v_lshlrev_b32_e32 v87, 1, v112
	ds_store_b128 v2, v[97:100] offset:1760
	ds_store_b128 v2, v[68:71] offset:1920
	;; [unrolled: 1-line block ×4, first 2 shown]
	v_add_co_u32 v0, s0, s8, v0
	s_wait_alu 0xf1ff
	v_add_co_ci_u32_e64 v1, s0, s9, v1, s0
	v_lshlrev_b64_e32 v[2:3], 4, v[87:88]
	v_lshlrev_b32_e32 v87, 1, v122
	global_wb scope:SCOPE_SE
	s_wait_dscnt 0x0
	s_barrier_signal -1
	s_barrier_wait -1
	global_inv scope:SCOPE_SE
	s_clause 0x1
	global_load_b128 v[12:15], v[0:1], off offset:640
	global_load_b128 v[8:11], v[0:1], off offset:656
	v_lshlrev_b64_e32 v[0:1], 4, v[87:88]
	v_add_co_u32 v2, s0, s8, v2
	s_wait_alu 0xf1ff
	v_add_co_ci_u32_e64 v3, s0, s9, v3, s0
	v_lshlrev_b32_e32 v87, 1, v124
	s_delay_alu instid0(VALU_DEP_4) | instskip(SKIP_2) | instid1(VALU_DEP_3)
	v_add_co_u32 v0, s0, s8, v0
	s_wait_alu 0xf1ff
	v_add_co_ci_u32_e64 v1, s0, s9, v1, s0
	v_lshlrev_b64_e32 v[4:5], 4, v[87:88]
	v_lshlrev_b32_e32 v87, 1, v121
	s_clause 0x3
	global_load_b128 v[28:31], v[2:3], off offset:640
	global_load_b128 v[24:27], v[2:3], off offset:656
	;; [unrolled: 1-line block ×4, first 2 shown]
	s_mov_b32 s5, 0x3febb67a
	v_lshlrev_b64_e32 v[0:1], 4, v[87:88]
	v_lshlrev_b32_e32 v87, 1, v120
	v_add_co_u32 v2, s0, s8, v4
	s_wait_alu 0xf1ff
	v_add_co_ci_u32_e64 v3, s0, s9, v5, s0
	s_delay_alu instid0(VALU_DEP_4)
	v_add_co_u32 v0, s0, s8, v0
	v_lshlrev_b64_e32 v[4:5], 4, v[87:88]
	v_lshlrev_b32_e32 v87, 1, v119
	s_wait_alu 0xf1ff
	v_add_co_ci_u32_e64 v1, s0, s9, v1, s0
	s_clause 0x3
	global_load_b128 v[32:35], v[2:3], off offset:640
	global_load_b128 v[36:39], v[2:3], off offset:656
	;; [unrolled: 1-line block ×4, first 2 shown]
	v_lshlrev_b64_e32 v[0:1], 4, v[87:88]
	v_lshlrev_b32_e32 v87, 1, v118
	v_add_co_u32 v2, s0, s8, v4
	s_wait_alu 0xf1ff
	v_add_co_ci_u32_e64 v3, s0, s9, v5, s0
	s_delay_alu instid0(VALU_DEP_4)
	v_add_co_u32 v0, s0, s8, v0
	v_lshlrev_b64_e32 v[4:5], 4, v[87:88]
	v_lshlrev_b32_e32 v87, 1, v117
	s_wait_alu 0xf1ff
	v_add_co_ci_u32_e64 v1, s0, s9, v1, s0
	s_clause 0x3
	global_load_b128 v[60:63], v[2:3], off offset:640
	global_load_b128 v[64:67], v[2:3], off offset:656
	;; [unrolled: 1-line block ×4, first 2 shown]
	v_lshlrev_b64_e32 v[0:1], 4, v[87:88]
	v_lshlrev_b32_e32 v87, 1, v116
	v_add_co_u32 v2, s0, s8, v4
	s_wait_alu 0xf1ff
	v_add_co_ci_u32_e64 v3, s0, s9, v5, s0
	s_delay_alu instid0(VALU_DEP_3)
	v_lshlrev_b64_e32 v[4:5], 4, v[87:88]
	v_add_co_u32 v0, s0, s8, v0
	s_wait_alu 0xf1ff
	v_add_co_ci_u32_e64 v1, s0, s9, v1, s0
	s_clause 0x2
	global_load_b128 v[84:87], v[2:3], off offset:640
	global_load_b128 v[89:92], v[2:3], off offset:656
	;; [unrolled: 1-line block ×3, first 2 shown]
	v_add_co_u32 v2, s0, s8, v4
	s_wait_alu 0xf1ff
	v_add_co_ci_u32_e64 v3, s0, s9, v5, s0
	s_clause 0x2
	global_load_b128 v[101:104], v[0:1], off offset:656
	global_load_b128 v[131:134], v[2:3], off offset:640
	;; [unrolled: 1-line block ×3, first 2 shown]
	ds_load_b128 v[40:43], v113 offset:800
	ds_load_b128 v[44:47], v113 offset:1600
	;; [unrolled: 1-line block ×4, first 2 shown]
	ds_load_b128 v[0:3], v218
	ds_load_b128 v[139:142], v113 offset:960
	ds_load_b128 v[143:146], v113 offset:1520
	;; [unrolled: 1-line block ×16, first 2 shown]
	ds_load_b128 v[4:7], v126
	s_mov_b32 s0, 0xe8584caa
	s_mov_b32 s1, 0xbfebb67a
	s_wait_alu 0xfffe
	s_mov_b32 s4, s0
	s_wait_loadcnt_dscnt 0x1315
	v_mul_f64_e32 v[72:73], v[42:43], v[14:15]
	s_wait_loadcnt_dscnt 0x1214
	v_mul_f64_e32 v[78:79], v[46:47], v[10:11]
	v_mul_f64_e32 v[14:15], v[40:41], v[14:15]
	;; [unrolled: 1-line block ×3, first 2 shown]
	s_wait_loadcnt_dscnt 0x1113
	v_mul_f64_e32 v[93:94], v[50:51], v[30:31]
	s_wait_loadcnt_dscnt 0x1012
	v_mul_f64_e32 v[99:100], v[70:71], v[26:27]
	;; [unrolled: 2-line block ×3, first 2 shown]
	v_mul_f64_e32 v[30:31], v[48:49], v[30:31]
	s_wait_loadcnt_dscnt 0xe0e
	v_mul_f64_e32 v[205:206], v[149:150], v[18:19]
	v_mul_f64_e32 v[18:19], v[147:148], v[18:19]
	;; [unrolled: 1-line block ×4, first 2 shown]
	s_wait_loadcnt_dscnt 0xd0d
	v_mul_f64_e32 v[207:208], v[153:154], v[34:35]
	v_mul_f64_e32 v[34:35], v[151:152], v[34:35]
	s_wait_loadcnt_dscnt 0xc0b
	v_mul_f64_e32 v[209:210], v[161:162], v[38:39]
	v_mul_f64_e32 v[38:39], v[159:160], v[38:39]
	;; [unrolled: 3-line block ×3, first 2 shown]
	v_fma_f64 v[211:212], v[40:41], v[12:13], v[72:73]
	v_mul_f64_e32 v[72:73], v[157:158], v[54:55]
	v_mul_f64_e32 v[54:55], v[155:156], v[54:55]
	v_fma_f64 v[40:41], v[44:45], v[8:9], v[78:79]
	s_wait_loadcnt_dscnt 0x909
	v_mul_f64_e32 v[78:79], v[169:170], v[62:63]
	v_mul_f64_e32 v[219:220], v[167:168], v[62:63]
	s_wait_loadcnt_dscnt 0x807
	v_mul_f64_e32 v[221:222], v[177:178], v[66:67]
	v_mul_f64_e32 v[66:67], v[175:176], v[66:67]
	s_wait_loadcnt 0x7
	v_mul_f64_e32 v[227:228], v[171:172], v[76:77]
	s_wait_loadcnt_dscnt 0x606
	v_mul_f64_e32 v[229:230], v[181:182], v[82:83]
	v_mul_f64_e32 v[82:83], v[179:180], v[82:83]
	v_fma_f64 v[223:224], v[48:49], v[28:29], v[93:94]
	v_mul_f64_e32 v[93:94], v[173:174], v[76:77]
	v_fma_f64 v[44:45], v[68:69], v[24:25], v[99:100]
	v_fma_f64 v[139:140], v[139:140], v[20:21], v[203:204]
	v_fma_f64 v[225:226], v[50:51], v[28:29], -v[30:31]
	v_fma_f64 v[48:49], v[147:148], v[16:17], v[205:206]
	v_fma_f64 v[50:51], v[149:150], v[16:17], -v[18:19]
	s_wait_loadcnt_dscnt 0x505
	v_mul_f64_e32 v[99:100], v[185:186], v[86:87]
	v_mul_f64_e32 v[86:87], v[183:184], v[86:87]
	s_wait_loadcnt_dscnt 0x403
	v_mul_f64_e32 v[231:232], v[193:194], v[91:92]
	v_mul_f64_e32 v[91:92], v[191:192], v[91:92]
	s_wait_loadcnt 0x3
	v_mul_f64_e32 v[203:204], v[189:190], v[97:98]
	v_mul_f64_e32 v[233:234], v[187:188], v[97:98]
	v_fma_f64 v[213:214], v[42:43], v[12:13], -v[14:15]
	s_wait_loadcnt_dscnt 0x202
	v_mul_f64_e32 v[235:236], v[197:198], v[103:104]
	v_mul_f64_e32 v[103:104], v[195:196], v[103:104]
	s_wait_loadcnt 0x1
	v_mul_f64_e32 v[147:148], v[145:146], v[133:134]
	v_mul_f64_e32 v[133:134], v[143:144], v[133:134]
	s_wait_loadcnt_dscnt 0x1
	v_mul_f64_e32 v[149:150], v[201:202], v[137:138]
	v_mul_f64_e32 v[137:138], v[199:200], v[137:138]
	v_fma_f64 v[42:43], v[46:47], v[8:9], -v[10:11]
	v_fma_f64 v[46:47], v[70:71], v[24:25], -v[26:27]
	;; [unrolled: 1-line block ×3, first 2 shown]
	v_fma_f64 v[151:152], v[151:152], v[32:33], v[207:208]
	v_fma_f64 v[153:154], v[153:154], v[32:33], -v[34:35]
	v_fma_f64 v[62:63], v[159:160], v[36:37], v[209:210]
	v_fma_f64 v[68:69], v[161:162], v[36:37], -v[38:39]
	v_fma_f64 v[70:71], v[163:164], v[56:57], v[215:216]
	v_fma_f64 v[155:156], v[155:156], v[52:53], v[72:73]
	v_fma_f64 v[157:158], v[157:158], v[52:53], -v[54:55]
	v_fma_f64 v[76:77], v[165:166], v[56:57], -v[58:59]
	v_fma_f64 v[159:160], v[167:168], v[60:61], v[78:79]
	v_fma_f64 v[161:162], v[169:170], v[60:61], -v[219:220]
	v_fma_f64 v[72:73], v[175:176], v[64:65], v[221:222]
	v_fma_f64 v[78:79], v[177:178], v[64:65], -v[66:67]
	v_fma_f64 v[165:166], v[173:174], v[74:75], -v[227:228]
	v_fma_f64 v[64:65], v[179:180], v[80:81], v[229:230]
	ds_load_b128 v[12:15], v128
	ds_load_b128 v[8:11], v130
	;; [unrolled: 1-line block ×4, first 2 shown]
	v_fma_f64 v[163:164], v[171:172], v[74:75], v[93:94]
	v_fma_f64 v[74:75], v[181:182], v[80:81], -v[82:83]
	ds_load_b128 v[36:39], v125
	ds_load_b128 v[20:23], v106
	ds_load_b128 v[32:35], v127
	ds_load_b128 v[24:27], v105
	v_add_f64_e64 v[80:81], v[211:212], -v[40:41]
	global_wb scope:SCOPE_SE
	s_wait_dscnt 0x0
	v_fma_f64 v[97:98], v[183:184], v[84:85], v[99:100]
	v_fma_f64 v[99:100], v[185:186], v[84:85], -v[86:87]
	v_fma_f64 v[58:59], v[191:192], v[89:90], v[231:232]
	v_fma_f64 v[66:67], v[193:194], v[89:90], -v[91:92]
	;; [unrolled: 2-line block ×3, first 2 shown]
	v_add_f64_e32 v[91:92], v[2:3], v[213:214]
	v_fma_f64 v[54:55], v[195:196], v[101:102], v[235:236]
	v_fma_f64 v[60:61], v[197:198], v[101:102], -v[103:104]
	v_fma_f64 v[84:85], v[143:144], v[131:132], v[147:148]
	v_fma_f64 v[89:90], v[145:146], v[131:132], -v[133:134]
	;; [unrolled: 2-line block ×3, first 2 shown]
	v_add_f64_e32 v[103:104], v[211:212], v[40:41]
	v_add_f64_e32 v[101:102], v[213:214], v[42:43]
	;; [unrolled: 1-line block ×15, first 2 shown]
	v_add_f64_e64 v[82:83], v[213:214], -v[42:43]
	v_add_f64_e32 v[167:168], v[38:39], v[141:142]
	v_add_f64_e32 v[169:170], v[36:37], v[139:140]
	;; [unrolled: 1-line block ×6, first 2 shown]
	v_add_f64_e64 v[143:144], v[225:226], -v[46:47]
	v_add_f64_e64 v[145:146], v[223:224], -v[44:45]
	v_add_f64_e64 v[141:142], v[141:142], -v[50:51]
	v_add_f64_e32 v[209:210], v[16:17], v[97:98]
	v_add_f64_e32 v[207:208], v[18:19], v[99:100]
	;; [unrolled: 1-line block ×4, first 2 shown]
	v_add_f64_e64 v[221:222], v[99:100], -v[66:67]
	v_add_f64_e64 v[223:224], v[97:98], -v[58:59]
	;; [unrolled: 1-line block ×3, first 2 shown]
	v_add_f64_e32 v[211:212], v[93:94], v[54:55]
	v_add_f64_e32 v[213:214], v[95:96], v[60:61]
	v_add_f64_e64 v[153:154], v[153:154], -v[68:69]
	v_add_f64_e64 v[151:152], v[151:152], -v[62:63]
	v_add_f64_e32 v[215:216], v[84:85], v[52:53]
	v_add_f64_e32 v[219:220], v[89:90], v[56:57]
	v_fma_f64 v[103:104], v[103:104], -0.5, v[0:1]
	v_fma_f64 v[99:100], v[101:102], -0.5, v[2:3]
	;; [unrolled: 1-line block ×6, first 2 shown]
	v_add_f64_e32 v[225:226], v[22:23], v[95:96]
	v_add_f64_e32 v[227:228], v[20:21], v[93:94]
	v_add_f64_e64 v[147:148], v[95:96], -v[60:61]
	v_add_f64_e64 v[149:150], v[93:94], -v[54:55]
	v_fma_f64 v[93:94], v[171:172], -0.5, v[32:33]
	v_fma_f64 v[95:96], v[173:174], -0.5, v[34:35]
	v_add_f64_e32 v[183:184], v[14:15], v[157:158]
	v_add_f64_e32 v[185:186], v[12:13], v[155:156]
	v_add_f64_e64 v[157:158], v[157:158], -v[76:77]
	v_add_f64_e64 v[155:156], v[155:156], -v[70:71]
	v_add_f64_e32 v[171:172], v[26:27], v[89:90]
	v_add_f64_e32 v[173:174], v[24:25], v[84:85]
	v_add_f64_e64 v[229:230], v[89:90], -v[56:57]
	v_add_f64_e64 v[231:232], v[84:85], -v[52:53]
	v_fma_f64 v[84:85], v[179:180], -0.5, v[12:13]
	v_fma_f64 v[89:90], v[181:182], -0.5, v[14:15]
	v_add_f64_e32 v[191:192], v[10:11], v[161:162]
	v_add_f64_e32 v[193:194], v[8:9], v[159:160]
	v_add_f64_e64 v[161:162], v[161:162], -v[78:79]
	v_add_f64_e64 v[159:160], v[159:160], -v[72:73]
	v_add_f64_e32 v[2:3], v[91:92], v[42:43]
	v_add_f64_e32 v[0:1], v[86:87], v[40:41]
	v_fma_f64 v[86:87], v[187:188], -0.5, v[8:9]
	v_fma_f64 v[91:92], v[189:190], -0.5, v[10:11]
	v_add_f64_e32 v[199:200], v[6:7], v[165:166]
	v_add_f64_e32 v[201:202], v[4:5], v[163:164]
	v_add_f64_e64 v[165:166], v[165:166], -v[74:75]
	v_add_f64_e64 v[163:164], v[163:164], -v[64:65]
	v_fma_f64 v[131:132], v[195:196], -0.5, v[4:5]
	v_fma_f64 v[133:134], v[197:198], -0.5, v[6:7]
	v_add_f64_e32 v[14:15], v[135:136], v[46:47]
	v_add_f64_e32 v[12:13], v[137:138], v[44:45]
	v_fma_f64 v[135:136], v[203:204], -0.5, v[16:17]
	v_fma_f64 v[137:138], v[205:206], -0.5, v[18:19]
	v_add_f64_e32 v[30:31], v[167:168], v[50:51]
	v_add_f64_e32 v[28:29], v[169:170], v[48:49]
	;; [unrolled: 4-line block ×3, first 2 shown]
	v_fma_f64 v[175:176], v[215:216], -0.5, v[24:25]
	v_fma_f64 v[177:178], v[219:220], -0.5, v[26:27]
	v_fma_f64 v[4:5], v[82:83], s[0:1], v[103:104]
	s_wait_alu 0xfffe
	v_fma_f64 v[6:7], v[80:81], s[4:5], v[99:100]
	v_fma_f64 v[16:17], v[82:83], s[4:5], v[103:104]
	;; [unrolled: 1-line block ×15, first 2 shown]
	v_add_f64_e32 v[50:51], v[183:184], v[76:77]
	v_add_f64_e32 v[48:49], v[185:186], v[70:71]
	v_fma_f64 v[68:69], v[157:158], s[0:1], v[84:85]
	v_fma_f64 v[70:71], v[155:156], s[4:5], v[89:90]
	v_fma_f64 v[80:81], v[157:158], s[4:5], v[84:85]
	v_fma_f64 v[82:83], v[155:156], s[0:1], v[89:90]
	v_add_f64_e32 v[78:79], v[191:192], v[78:79]
	v_add_f64_e32 v[76:77], v[193:194], v[72:73]
	v_fma_f64 v[84:85], v[161:162], s[0:1], v[86:87]
	v_fma_f64 v[89:90], v[161:162], s[4:5], v[86:87]
	v_fma_f64 v[86:87], v[159:160], s[4:5], v[91:92]
	v_fma_f64 v[91:92], v[159:160], s[0:1], v[91:92]
	;; [unrolled: 6-line block ×6, first 2 shown]
	s_barrier_signal -1
	s_barrier_wait -1
	global_inv scope:SCOPE_SE
	ds_store_b128 v113, v[0:3]
	ds_store_b128 v113, v[4:7] offset:800
	ds_store_b128 v113, v[16:19] offset:1600
	ds_store_b128 v129, v[12:15]
	ds_store_b128 v129, v[20:23] offset:800
	ds_store_b128 v129, v[24:27] offset:1600
	;; [unrolled: 3-line block ×10, first 2 shown]
	global_wb scope:SCOPE_SE
	s_wait_dscnt 0x0
	s_barrier_signal -1
	s_barrier_wait -1
	global_inv scope:SCOPE_SE
	ds_load_b128 v[4:7], v218
	v_sub_nc_u32_e32 v12, v217, v109
	s_mov_b32 s1, exec_lo
                                        ; implicit-def: $vgpr2_vgpr3
                                        ; implicit-def: $vgpr10_vgpr11
                                        ; implicit-def: $vgpr8_vgpr9
	v_cmpx_ne_u32_e32 0, v108
	s_wait_alu 0xfffe
	s_xor_b32 s1, exec_lo, s1
	s_cbranch_execz .LBB0_14
; %bb.13:
	v_mov_b32_e32 v109, v88
	s_delay_alu instid0(VALU_DEP_1) | instskip(NEXT) | instid1(VALU_DEP_1)
	v_lshlrev_b64_e32 v[0:1], 4, v[108:109]
	v_add_co_u32 v0, s0, s8, v0
	s_wait_alu 0xf1ff
	s_delay_alu instid0(VALU_DEP_2)
	v_add_co_ci_u32_e64 v1, s0, s9, v1, s0
	global_load_b128 v[8:11], v[0:1], off offset:2240
	ds_load_b128 v[0:3], v12 offset:2400
	s_wait_dscnt 0x0
	v_add_f64_e64 v[13:14], v[4:5], -v[0:1]
	v_add_f64_e32 v[15:16], v[6:7], v[2:3]
	v_add_f64_e64 v[2:3], v[6:7], -v[2:3]
	v_add_f64_e32 v[0:1], v[4:5], v[0:1]
	s_delay_alu instid0(VALU_DEP_4) | instskip(NEXT) | instid1(VALU_DEP_4)
	v_mul_f64_e32 v[6:7], 0.5, v[13:14]
	v_mul_f64_e32 v[4:5], 0.5, v[15:16]
	s_delay_alu instid0(VALU_DEP_4) | instskip(SKIP_1) | instid1(VALU_DEP_3)
	v_mul_f64_e32 v[2:3], 0.5, v[2:3]
	s_wait_loadcnt 0x0
	v_mul_f64_e32 v[13:14], v[6:7], v[10:11]
	s_delay_alu instid0(VALU_DEP_2) | instskip(SKIP_1) | instid1(VALU_DEP_3)
	v_fma_f64 v[15:16], v[4:5], v[10:11], v[2:3]
	v_fma_f64 v[2:3], v[4:5], v[10:11], -v[2:3]
	v_fma_f64 v[17:18], v[0:1], 0.5, v[13:14]
	v_fma_f64 v[0:1], v[0:1], 0.5, -v[13:14]
	s_delay_alu instid0(VALU_DEP_4) | instskip(NEXT) | instid1(VALU_DEP_4)
	v_fma_f64 v[10:11], -v[8:9], v[6:7], v[15:16]
	v_fma_f64 v[2:3], -v[8:9], v[6:7], v[2:3]
	s_delay_alu instid0(VALU_DEP_4) | instskip(NEXT) | instid1(VALU_DEP_4)
	v_fma_f64 v[13:14], v[4:5], v[8:9], v[17:18]
	v_fma_f64 v[0:1], -v[4:5], v[8:9], v[0:1]
	v_dual_mov_b32 v8, v108 :: v_dual_mov_b32 v9, v109
                                        ; implicit-def: $vgpr4_vgpr5
	ds_store_b64 v218, v[13:14]
.LBB0_14:
	s_wait_alu 0xfffe
	s_and_not1_saveexec_b32 s0, s1
	s_cbranch_execz .LBB0_16
; %bb.15:
	s_wait_dscnt 0x0
	v_add_f64_e32 v[13:14], v[4:5], v[6:7]
	v_add_f64_e64 v[0:1], v[4:5], -v[6:7]
	ds_load_b64 v[4:5], v217 offset:1208
	v_mov_b32_e32 v10, 0
	v_dual_mov_b32 v11, 0 :: v_dual_mov_b32 v8, 0
	s_delay_alu instid0(VALU_DEP_2) | instskip(NEXT) | instid1(VALU_DEP_2)
	v_dual_mov_b32 v9, 0 :: v_dual_mov_b32 v2, v10
	v_mov_b32_e32 v3, v11
	s_wait_dscnt 0x0
	v_xor_b32_e32 v5, 0x80000000, v5
	ds_store_b64 v218, v[13:14]
	ds_store_b64 v217, v[4:5] offset:1208
.LBB0_16:
	s_wait_alu 0xfffe
	s_or_b32 exec_lo, exec_lo, s0
	v_mov_b32_e32 v113, 0
	v_lshl_add_u32 v25, v122, 4, v217
	v_lshlrev_b64_e32 v[8:9], 4, v[8:9]
	s_wait_dscnt 0x0
	s_delay_alu instid0(VALU_DEP_3) | instskip(SKIP_2) | instid1(VALU_DEP_2)
	v_lshlrev_b64_e32 v[4:5], 4, v[112:113]
	v_mov_b32_e32 v123, v113
	v_mov_b32_e32 v125, v113
	v_lshlrev_b64_e32 v[13:14], 4, v[122:123]
	s_delay_alu instid0(VALU_DEP_4) | instskip(SKIP_3) | instid1(VALU_DEP_4)
	v_add_co_u32 v4, s0, s8, v4
	s_wait_alu 0xf1ff
	v_add_co_ci_u32_e64 v5, s0, s9, v5, s0
	v_mov_b32_e32 v122, v113
	v_add_co_u32 v13, s0, s8, v13
	global_load_b128 v[4:7], v[4:5], off offset:2240
	s_wait_alu 0xf1ff
	v_add_co_ci_u32_e64 v14, s0, s9, v14, s0
	global_load_b128 v[13:16], v[13:14], off offset:2240
	ds_store_b64 v218, v[10:11] offset:8
	ds_store_b128 v12, v[0:3] offset:2400
	ds_load_b128 v[0:3], v129
	ds_load_b128 v[17:20], v12 offset:2320
	s_wait_dscnt 0x0
	v_add_f64_e64 v[10:11], v[0:1], -v[17:18]
	v_add_f64_e32 v[21:22], v[2:3], v[19:20]
	v_add_f64_e64 v[2:3], v[2:3], -v[19:20]
	v_add_f64_e32 v[0:1], v[0:1], v[17:18]
	s_delay_alu instid0(VALU_DEP_4) | instskip(NEXT) | instid1(VALU_DEP_4)
	v_mul_f64_e32 v[10:11], 0.5, v[10:11]
	v_mul_f64_e32 v[19:20], 0.5, v[21:22]
	s_delay_alu instid0(VALU_DEP_4) | instskip(SKIP_1) | instid1(VALU_DEP_3)
	v_mul_f64_e32 v[2:3], 0.5, v[2:3]
	s_wait_loadcnt 0x1
	v_mul_f64_e32 v[17:18], v[10:11], v[6:7]
	s_delay_alu instid0(VALU_DEP_2) | instskip(SKIP_1) | instid1(VALU_DEP_3)
	v_fma_f64 v[21:22], v[19:20], v[6:7], v[2:3]
	v_fma_f64 v[6:7], v[19:20], v[6:7], -v[2:3]
	v_fma_f64 v[23:24], v[0:1], 0.5, v[17:18]
	v_fma_f64 v[17:18], v[0:1], 0.5, -v[17:18]
	s_delay_alu instid0(VALU_DEP_4) | instskip(NEXT) | instid1(VALU_DEP_4)
	v_fma_f64 v[2:3], -v[4:5], v[10:11], v[21:22]
	v_fma_f64 v[6:7], -v[4:5], v[10:11], v[6:7]
	v_lshlrev_b64_e32 v[10:11], 4, v[124:125]
	s_delay_alu instid0(VALU_DEP_1) | instskip(SKIP_1) | instid1(VALU_DEP_2)
	v_add_co_u32 v10, s0, s8, v10
	s_wait_alu 0xf1ff
	v_add_co_ci_u32_e64 v11, s0, s9, v11, s0
	v_fma_f64 v[0:1], v[19:20], v[4:5], v[23:24]
	v_fma_f64 v[4:5], -v[19:20], v[4:5], v[17:18]
	global_load_b128 v[17:20], v[10:11], off offset:2240
	ds_store_b128 v129, v[0:3]
	ds_store_b128 v12, v[4:7] offset:2320
	ds_load_b128 v[0:3], v25
	ds_load_b128 v[4:7], v12 offset:2240
	s_wait_dscnt 0x0
	v_add_f64_e64 v[10:11], v[0:1], -v[4:5]
	v_add_f64_e32 v[21:22], v[2:3], v[6:7]
	v_add_f64_e64 v[2:3], v[2:3], -v[6:7]
	v_add_f64_e32 v[0:1], v[0:1], v[4:5]
	s_delay_alu instid0(VALU_DEP_4) | instskip(NEXT) | instid1(VALU_DEP_4)
	v_mul_f64_e32 v[6:7], 0.5, v[10:11]
	v_mul_f64_e32 v[10:11], 0.5, v[21:22]
	s_delay_alu instid0(VALU_DEP_4) | instskip(SKIP_1) | instid1(VALU_DEP_3)
	v_mul_f64_e32 v[2:3], 0.5, v[2:3]
	s_wait_loadcnt 0x1
	v_mul_f64_e32 v[4:5], v[6:7], v[15:16]
	s_delay_alu instid0(VALU_DEP_2) | instskip(SKIP_1) | instid1(VALU_DEP_3)
	v_fma_f64 v[21:22], v[10:11], v[15:16], v[2:3]
	v_fma_f64 v[15:16], v[10:11], v[15:16], -v[2:3]
	v_fma_f64 v[23:24], v[0:1], 0.5, v[4:5]
	v_fma_f64 v[4:5], v[0:1], 0.5, -v[4:5]
	s_delay_alu instid0(VALU_DEP_4) | instskip(NEXT) | instid1(VALU_DEP_4)
	v_fma_f64 v[2:3], -v[13:14], v[6:7], v[21:22]
	v_fma_f64 v[6:7], -v[13:14], v[6:7], v[15:16]
	s_delay_alu instid0(VALU_DEP_4) | instskip(NEXT) | instid1(VALU_DEP_4)
	v_fma_f64 v[0:1], v[10:11], v[13:14], v[23:24]
	v_fma_f64 v[4:5], -v[10:11], v[13:14], v[4:5]
	v_lshlrev_b64_e32 v[10:11], 4, v[121:122]
	v_mov_b32_e32 v121, v113
	s_delay_alu instid0(VALU_DEP_2) | instskip(SKIP_1) | instid1(VALU_DEP_3)
	v_add_co_u32 v10, s0, s8, v10
	s_wait_alu 0xf1ff
	v_add_co_ci_u32_e64 v11, s0, s9, v11, s0
	global_load_b128 v[13:16], v[10:11], off offset:2240
	ds_store_b128 v25, v[0:3]
	ds_store_b128 v12, v[4:7] offset:2240
	ds_load_b128 v[0:3], v127
	ds_load_b128 v[4:7], v12 offset:2160
	s_wait_dscnt 0x0
	v_add_f64_e64 v[10:11], v[0:1], -v[4:5]
	v_add_f64_e32 v[21:22], v[2:3], v[6:7]
	v_add_f64_e64 v[2:3], v[2:3], -v[6:7]
	v_add_f64_e32 v[0:1], v[0:1], v[4:5]
	s_delay_alu instid0(VALU_DEP_4) | instskip(NEXT) | instid1(VALU_DEP_4)
	v_mul_f64_e32 v[6:7], 0.5, v[10:11]
	v_mul_f64_e32 v[10:11], 0.5, v[21:22]
	s_delay_alu instid0(VALU_DEP_4) | instskip(SKIP_1) | instid1(VALU_DEP_3)
	v_mul_f64_e32 v[2:3], 0.5, v[2:3]
	s_wait_loadcnt 0x1
	v_mul_f64_e32 v[4:5], v[6:7], v[19:20]
	s_delay_alu instid0(VALU_DEP_2) | instskip(SKIP_1) | instid1(VALU_DEP_3)
	v_fma_f64 v[21:22], v[10:11], v[19:20], v[2:3]
	v_fma_f64 v[19:20], v[10:11], v[19:20], -v[2:3]
	v_fma_f64 v[23:24], v[0:1], 0.5, v[4:5]
	v_fma_f64 v[4:5], v[0:1], 0.5, -v[4:5]
	s_delay_alu instid0(VALU_DEP_4) | instskip(NEXT) | instid1(VALU_DEP_4)
	v_fma_f64 v[2:3], -v[17:18], v[6:7], v[21:22]
	v_fma_f64 v[6:7], -v[17:18], v[6:7], v[19:20]
	s_delay_alu instid0(VALU_DEP_4) | instskip(NEXT) | instid1(VALU_DEP_4)
	v_fma_f64 v[0:1], v[10:11], v[17:18], v[23:24]
	v_fma_f64 v[4:5], -v[10:11], v[17:18], v[4:5]
	v_lshlrev_b64_e32 v[10:11], 4, v[120:121]
	v_mov_b32_e32 v120, v113
	s_delay_alu instid0(VALU_DEP_2) | instskip(SKIP_1) | instid1(VALU_DEP_3)
	v_add_co_u32 v10, s0, s8, v10
	s_wait_alu 0xf1ff
	v_add_co_ci_u32_e64 v11, s0, s9, v11, s0
	;; [unrolled: 34-line block ×5, first 2 shown]
	global_load_b128 v[13:16], v[10:11], off offset:2240
	ds_store_b128 v126, v[0:3]
	ds_store_b128 v12, v[4:7] offset:1920
	ds_load_b128 v[0:3], v107
	ds_load_b128 v[4:7], v12 offset:1840
	s_wait_dscnt 0x0
	v_add_f64_e64 v[10:11], v[0:1], -v[4:5]
	v_add_f64_e32 v[21:22], v[2:3], v[6:7]
	v_add_f64_e64 v[2:3], v[2:3], -v[6:7]
	v_add_f64_e32 v[0:1], v[0:1], v[4:5]
	s_delay_alu instid0(VALU_DEP_4) | instskip(NEXT) | instid1(VALU_DEP_4)
	v_mul_f64_e32 v[6:7], 0.5, v[10:11]
	v_mul_f64_e32 v[10:11], 0.5, v[21:22]
	s_delay_alu instid0(VALU_DEP_4) | instskip(SKIP_1) | instid1(VALU_DEP_3)
	v_mul_f64_e32 v[2:3], 0.5, v[2:3]
	s_wait_loadcnt 0x1
	v_mul_f64_e32 v[4:5], v[6:7], v[19:20]
	s_delay_alu instid0(VALU_DEP_2) | instskip(SKIP_1) | instid1(VALU_DEP_3)
	v_fma_f64 v[21:22], v[10:11], v[19:20], v[2:3]
	v_fma_f64 v[19:20], v[10:11], v[19:20], -v[2:3]
	v_fma_f64 v[23:24], v[0:1], 0.5, v[4:5]
	v_fma_f64 v[4:5], v[0:1], 0.5, -v[4:5]
	s_delay_alu instid0(VALU_DEP_4) | instskip(NEXT) | instid1(VALU_DEP_4)
	v_fma_f64 v[2:3], -v[17:18], v[6:7], v[21:22]
	v_fma_f64 v[6:7], -v[17:18], v[6:7], v[19:20]
	s_delay_alu instid0(VALU_DEP_4) | instskip(NEXT) | instid1(VALU_DEP_4)
	v_fma_f64 v[0:1], v[10:11], v[17:18], v[23:24]
	v_fma_f64 v[4:5], -v[10:11], v[17:18], v[4:5]
	v_lshlrev_b64_e32 v[10:11], 4, v[116:117]
	s_delay_alu instid0(VALU_DEP_1) | instskip(SKIP_1) | instid1(VALU_DEP_2)
	v_add_co_u32 v10, s0, s8, v10
	s_wait_alu 0xf1ff
	v_add_co_ci_u32_e64 v11, s0, s9, v11, s0
	s_add_nc_u64 s[0:1], s[8:9], 0x8c0
	global_load_b128 v[17:20], v[10:11], off offset:2240
	ds_store_b128 v107, v[0:3]
	ds_store_b128 v12, v[4:7] offset:1840
	ds_load_b128 v[0:3], v106
	ds_load_b128 v[4:7], v12 offset:1760
	s_wait_dscnt 0x0
	v_add_f64_e64 v[10:11], v[0:1], -v[4:5]
	v_add_f64_e32 v[21:22], v[2:3], v[6:7]
	v_add_f64_e64 v[2:3], v[2:3], -v[6:7]
	v_add_f64_e32 v[0:1], v[0:1], v[4:5]
	s_delay_alu instid0(VALU_DEP_4) | instskip(NEXT) | instid1(VALU_DEP_4)
	v_mul_f64_e32 v[6:7], 0.5, v[10:11]
	v_mul_f64_e32 v[10:11], 0.5, v[21:22]
	s_delay_alu instid0(VALU_DEP_4) | instskip(SKIP_1) | instid1(VALU_DEP_3)
	v_mul_f64_e32 v[2:3], 0.5, v[2:3]
	s_wait_loadcnt 0x1
	v_mul_f64_e32 v[4:5], v[6:7], v[15:16]
	s_delay_alu instid0(VALU_DEP_2) | instskip(SKIP_1) | instid1(VALU_DEP_3)
	v_fma_f64 v[21:22], v[10:11], v[15:16], v[2:3]
	v_fma_f64 v[15:16], v[10:11], v[15:16], -v[2:3]
	v_fma_f64 v[23:24], v[0:1], 0.5, v[4:5]
	v_fma_f64 v[4:5], v[0:1], 0.5, -v[4:5]
	s_delay_alu instid0(VALU_DEP_4) | instskip(NEXT) | instid1(VALU_DEP_4)
	v_fma_f64 v[2:3], -v[13:14], v[6:7], v[21:22]
	v_fma_f64 v[6:7], -v[13:14], v[6:7], v[15:16]
	s_wait_alu 0xfffe
	v_add_co_u32 v21, s0, s0, v8
	s_wait_alu 0xf1ff
	v_add_co_ci_u32_e64 v22, s0, s1, v9, s0
	v_fma_f64 v[0:1], v[10:11], v[13:14], v[23:24]
	v_fma_f64 v[4:5], -v[10:11], v[13:14], v[4:5]
	global_load_b128 v[8:11], v[21:22], off offset:800
	ds_store_b128 v106, v[0:3]
	ds_store_b128 v12, v[4:7] offset:1760
	ds_load_b128 v[0:3], v105
	ds_load_b128 v[4:7], v12 offset:1680
	s_wait_dscnt 0x0
	v_add_f64_e64 v[13:14], v[0:1], -v[4:5]
	v_add_f64_e32 v[15:16], v[2:3], v[6:7]
	v_add_f64_e64 v[2:3], v[2:3], -v[6:7]
	v_add_f64_e32 v[0:1], v[0:1], v[4:5]
	s_delay_alu instid0(VALU_DEP_4) | instskip(NEXT) | instid1(VALU_DEP_4)
	v_mul_f64_e32 v[6:7], 0.5, v[13:14]
	v_mul_f64_e32 v[13:14], 0.5, v[15:16]
	s_delay_alu instid0(VALU_DEP_4) | instskip(SKIP_1) | instid1(VALU_DEP_3)
	v_mul_f64_e32 v[2:3], 0.5, v[2:3]
	s_wait_loadcnt 0x1
	v_mul_f64_e32 v[4:5], v[6:7], v[19:20]
	s_delay_alu instid0(VALU_DEP_2) | instskip(SKIP_1) | instid1(VALU_DEP_3)
	v_fma_f64 v[15:16], v[13:14], v[19:20], v[2:3]
	v_fma_f64 v[19:20], v[13:14], v[19:20], -v[2:3]
	v_fma_f64 v[23:24], v[0:1], 0.5, v[4:5]
	v_fma_f64 v[4:5], v[0:1], 0.5, -v[4:5]
	s_delay_alu instid0(VALU_DEP_4) | instskip(NEXT) | instid1(VALU_DEP_4)
	v_fma_f64 v[2:3], -v[17:18], v[6:7], v[15:16]
	v_fma_f64 v[6:7], -v[17:18], v[6:7], v[19:20]
	s_delay_alu instid0(VALU_DEP_4) | instskip(NEXT) | instid1(VALU_DEP_4)
	v_fma_f64 v[0:1], v[13:14], v[17:18], v[23:24]
	v_fma_f64 v[4:5], -v[13:14], v[17:18], v[4:5]
	global_load_b128 v[13:16], v[21:22], off offset:880
	ds_store_b128 v105, v[0:3]
	ds_store_b128 v12, v[4:7] offset:1680
	ds_load_b128 v[0:3], v218 offset:800
	ds_load_b128 v[4:7], v12 offset:1600
	s_wait_dscnt 0x0
	v_add_f64_e64 v[17:18], v[0:1], -v[4:5]
	v_add_f64_e32 v[19:20], v[2:3], v[6:7]
	v_add_f64_e64 v[2:3], v[2:3], -v[6:7]
	v_add_f64_e32 v[0:1], v[0:1], v[4:5]
	s_delay_alu instid0(VALU_DEP_4) | instskip(NEXT) | instid1(VALU_DEP_4)
	v_mul_f64_e32 v[6:7], 0.5, v[17:18]
	v_mul_f64_e32 v[17:18], 0.5, v[19:20]
	s_delay_alu instid0(VALU_DEP_4) | instskip(SKIP_1) | instid1(VALU_DEP_3)
	v_mul_f64_e32 v[2:3], 0.5, v[2:3]
	s_wait_loadcnt 0x1
	v_mul_f64_e32 v[4:5], v[6:7], v[10:11]
	s_delay_alu instid0(VALU_DEP_2) | instskip(SKIP_1) | instid1(VALU_DEP_3)
	v_fma_f64 v[19:20], v[17:18], v[10:11], v[2:3]
	v_fma_f64 v[10:11], v[17:18], v[10:11], -v[2:3]
	v_fma_f64 v[23:24], v[0:1], 0.5, v[4:5]
	v_fma_f64 v[4:5], v[0:1], 0.5, -v[4:5]
	s_delay_alu instid0(VALU_DEP_4) | instskip(NEXT) | instid1(VALU_DEP_4)
	v_fma_f64 v[2:3], -v[8:9], v[6:7], v[19:20]
	v_fma_f64 v[6:7], -v[8:9], v[6:7], v[10:11]
	s_delay_alu instid0(VALU_DEP_4) | instskip(NEXT) | instid1(VALU_DEP_4)
	v_fma_f64 v[0:1], v[17:18], v[8:9], v[23:24]
	v_fma_f64 v[4:5], -v[17:18], v[8:9], v[4:5]
	global_load_b128 v[8:11], v[21:22], off offset:960
	ds_store_b128 v218, v[0:3] offset:800
	ds_store_b128 v12, v[4:7] offset:1600
	ds_load_b128 v[0:3], v218 offset:880
	ds_load_b128 v[4:7], v12 offset:1520
	s_wait_dscnt 0x0
	v_add_f64_e64 v[17:18], v[0:1], -v[4:5]
	v_add_f64_e32 v[19:20], v[2:3], v[6:7]
	v_add_f64_e64 v[2:3], v[2:3], -v[6:7]
	v_add_f64_e32 v[0:1], v[0:1], v[4:5]
	s_delay_alu instid0(VALU_DEP_4) | instskip(NEXT) | instid1(VALU_DEP_4)
	v_mul_f64_e32 v[6:7], 0.5, v[17:18]
	v_mul_f64_e32 v[17:18], 0.5, v[19:20]
	s_delay_alu instid0(VALU_DEP_4) | instskip(SKIP_1) | instid1(VALU_DEP_3)
	v_mul_f64_e32 v[2:3], 0.5, v[2:3]
	s_wait_loadcnt 0x1
	v_mul_f64_e32 v[4:5], v[6:7], v[15:16]
	s_delay_alu instid0(VALU_DEP_2) | instskip(SKIP_1) | instid1(VALU_DEP_3)
	v_fma_f64 v[19:20], v[17:18], v[15:16], v[2:3]
	v_fma_f64 v[15:16], v[17:18], v[15:16], -v[2:3]
	v_fma_f64 v[23:24], v[0:1], 0.5, v[4:5]
	v_fma_f64 v[4:5], v[0:1], 0.5, -v[4:5]
	s_delay_alu instid0(VALU_DEP_4) | instskip(NEXT) | instid1(VALU_DEP_4)
	v_fma_f64 v[2:3], -v[13:14], v[6:7], v[19:20]
	v_fma_f64 v[6:7], -v[13:14], v[6:7], v[15:16]
	s_delay_alu instid0(VALU_DEP_4) | instskip(NEXT) | instid1(VALU_DEP_4)
	v_fma_f64 v[0:1], v[17:18], v[13:14], v[23:24]
	v_fma_f64 v[4:5], -v[17:18], v[13:14], v[4:5]
	global_load_b128 v[13:16], v[21:22], off offset:1040
	ds_store_b128 v218, v[0:3] offset:880
	;; [unrolled: 28-line block ×3, first 2 shown]
	ds_store_b128 v12, v[4:7] offset:1440
	ds_load_b128 v[0:3], v218 offset:1040
	ds_load_b128 v[4:7], v12 offset:1360
	s_wait_dscnt 0x0
	v_add_f64_e64 v[17:18], v[0:1], -v[4:5]
	v_add_f64_e32 v[19:20], v[2:3], v[6:7]
	v_add_f64_e64 v[2:3], v[2:3], -v[6:7]
	v_add_f64_e32 v[0:1], v[0:1], v[4:5]
	s_delay_alu instid0(VALU_DEP_4) | instskip(NEXT) | instid1(VALU_DEP_4)
	v_mul_f64_e32 v[6:7], 0.5, v[17:18]
	v_mul_f64_e32 v[17:18], 0.5, v[19:20]
	s_delay_alu instid0(VALU_DEP_4) | instskip(SKIP_1) | instid1(VALU_DEP_3)
	v_mul_f64_e32 v[2:3], 0.5, v[2:3]
	s_wait_loadcnt 0x1
	v_mul_f64_e32 v[4:5], v[6:7], v[15:16]
	s_delay_alu instid0(VALU_DEP_2) | instskip(SKIP_1) | instid1(VALU_DEP_3)
	v_fma_f64 v[19:20], v[17:18], v[15:16], v[2:3]
	v_fma_f64 v[15:16], v[17:18], v[15:16], -v[2:3]
	v_fma_f64 v[21:22], v[0:1], 0.5, v[4:5]
	v_fma_f64 v[4:5], v[0:1], 0.5, -v[4:5]
	s_delay_alu instid0(VALU_DEP_4) | instskip(NEXT) | instid1(VALU_DEP_4)
	v_fma_f64 v[2:3], -v[13:14], v[6:7], v[19:20]
	v_fma_f64 v[6:7], -v[13:14], v[6:7], v[15:16]
	s_delay_alu instid0(VALU_DEP_4) | instskip(NEXT) | instid1(VALU_DEP_4)
	v_fma_f64 v[0:1], v[17:18], v[13:14], v[21:22]
	v_fma_f64 v[4:5], -v[17:18], v[13:14], v[4:5]
	ds_store_b128 v218, v[0:3] offset:1040
	ds_store_b128 v12, v[4:7] offset:1360
	ds_load_b128 v[0:3], v218 offset:1120
	ds_load_b128 v[4:7], v12 offset:1280
	s_wait_dscnt 0x0
	v_add_f64_e64 v[13:14], v[0:1], -v[4:5]
	v_add_f64_e32 v[15:16], v[2:3], v[6:7]
	v_add_f64_e64 v[2:3], v[2:3], -v[6:7]
	v_add_f64_e32 v[0:1], v[0:1], v[4:5]
	s_delay_alu instid0(VALU_DEP_4) | instskip(NEXT) | instid1(VALU_DEP_4)
	v_mul_f64_e32 v[6:7], 0.5, v[13:14]
	v_mul_f64_e32 v[13:14], 0.5, v[15:16]
	s_delay_alu instid0(VALU_DEP_4) | instskip(SKIP_1) | instid1(VALU_DEP_3)
	v_mul_f64_e32 v[2:3], 0.5, v[2:3]
	s_wait_loadcnt 0x0
	v_mul_f64_e32 v[4:5], v[6:7], v[10:11]
	s_delay_alu instid0(VALU_DEP_2) | instskip(SKIP_1) | instid1(VALU_DEP_3)
	v_fma_f64 v[15:16], v[13:14], v[10:11], v[2:3]
	v_fma_f64 v[10:11], v[13:14], v[10:11], -v[2:3]
	v_fma_f64 v[17:18], v[0:1], 0.5, v[4:5]
	v_fma_f64 v[4:5], v[0:1], 0.5, -v[4:5]
	s_delay_alu instid0(VALU_DEP_4) | instskip(NEXT) | instid1(VALU_DEP_4)
	v_fma_f64 v[2:3], -v[8:9], v[6:7], v[15:16]
	v_fma_f64 v[6:7], -v[8:9], v[6:7], v[10:11]
	s_delay_alu instid0(VALU_DEP_4) | instskip(NEXT) | instid1(VALU_DEP_4)
	v_fma_f64 v[0:1], v[13:14], v[8:9], v[17:18]
	v_fma_f64 v[4:5], -v[13:14], v[8:9], v[4:5]
	ds_store_b128 v218, v[0:3] offset:1120
	ds_store_b128 v12, v[4:7] offset:1280
	global_wb scope:SCOPE_SE
	s_wait_dscnt 0x0
	s_barrier_signal -1
	s_barrier_wait -1
	global_inv scope:SCOPE_SE
	s_and_saveexec_b32 s0, vcc_lo
	s_cbranch_execz .LBB0_19
; %bb.17:
	v_mul_lo_u32 v2, s3, v114
	v_mul_lo_u32 v3, s2, v115
	v_mad_co_u64_u32 v[0:1], null, s2, v114, 0
	v_dual_mov_b32 v109, v113 :: v_dual_add_nc_u32 v112, 5, v108
	v_lshlrev_b64_e32 v[11:12], 4, v[110:111]
	s_delay_alu instid0(VALU_DEP_2) | instskip(NEXT) | instid1(VALU_DEP_4)
	v_lshlrev_b64_e32 v[13:14], 4, v[108:109]
	v_add3_u32 v1, v1, v3, v2
	v_lshl_add_u32 v2, v108, 4, v217
	v_lshlrev_b64_e32 v[15:16], 4, v[112:113]
	ds_load_b128 v[3:6], v2
	ds_load_b128 v[7:10], v2 offset:80
	v_lshlrev_b64_e32 v[0:1], 4, v[0:1]
	v_add_nc_u32_e32 v112, 10, v108
	s_delay_alu instid0(VALU_DEP_2) | instskip(SKIP_1) | instid1(VALU_DEP_3)
	v_add_co_u32 v0, vcc_lo, s6, v0
	s_wait_alu 0xfffd
	v_add_co_ci_u32_e32 v1, vcc_lo, s7, v1, vcc_lo
	s_delay_alu instid0(VALU_DEP_2) | instskip(SKIP_1) | instid1(VALU_DEP_2)
	v_add_co_u32 v0, vcc_lo, v0, v11
	s_wait_alu 0xfffd
	v_add_co_ci_u32_e32 v1, vcc_lo, v1, v12, vcc_lo
	s_delay_alu instid0(VALU_DEP_2) | instskip(SKIP_1) | instid1(VALU_DEP_2)
	v_add_co_u32 v11, vcc_lo, v0, v13
	s_wait_alu 0xfffd
	v_add_co_ci_u32_e32 v12, vcc_lo, v1, v14, vcc_lo
	v_add_co_u32 v13, vcc_lo, v0, v15
	s_wait_alu 0xfffd
	v_add_co_ci_u32_e32 v14, vcc_lo, v1, v16, vcc_lo
	v_lshlrev_b64_e32 v[15:16], 4, v[112:113]
	v_add_nc_u32_e32 v112, 15, v108
	s_wait_dscnt 0x1
	global_store_b128 v[11:12], v[3:6], off
	s_wait_dscnt 0x0
	global_store_b128 v[13:14], v[7:10], off
	ds_load_b128 v[3:6], v2 offset:160
	ds_load_b128 v[7:10], v2 offset:240
	v_add_co_u32 v21, vcc_lo, v0, v15
	v_lshlrev_b64_e32 v[19:20], 4, v[112:113]
	v_add_nc_u32_e32 v112, 20, v108
	s_wait_alu 0xfffd
	v_add_co_ci_u32_e32 v22, vcc_lo, v1, v16, vcc_lo
	ds_load_b128 v[11:14], v2 offset:320
	ds_load_b128 v[15:18], v2 offset:400
	v_lshlrev_b64_e32 v[23:24], 4, v[112:113]
	v_add_nc_u32_e32 v112, 25, v108
	v_add_co_u32 v19, vcc_lo, v0, v19
	s_wait_alu 0xfffd
	v_add_co_ci_u32_e32 v20, vcc_lo, v1, v20, vcc_lo
	s_delay_alu instid0(VALU_DEP_3) | instskip(SKIP_4) | instid1(VALU_DEP_4)
	v_lshlrev_b64_e32 v[25:26], 4, v[112:113]
	v_add_nc_u32_e32 v112, 30, v108
	v_add_co_u32 v23, vcc_lo, v0, v23
	s_wait_alu 0xfffd
	v_add_co_ci_u32_e32 v24, vcc_lo, v1, v24, vcc_lo
	v_add_co_u32 v25, vcc_lo, v0, v25
	v_lshlrev_b64_e32 v[27:28], 4, v[112:113]
	v_add_nc_u32_e32 v112, 35, v108
	s_wait_alu 0xfffd
	v_add_co_ci_u32_e32 v26, vcc_lo, v1, v26, vcc_lo
	s_wait_dscnt 0x3
	global_store_b128 v[21:22], v[3:6], off
	s_wait_dscnt 0x2
	global_store_b128 v[19:20], v[7:10], off
	s_wait_dscnt 0x1
	global_store_b128 v[23:24], v[11:14], off
	s_wait_dscnt 0x0
	global_store_b128 v[25:26], v[15:18], off
	ds_load_b128 v[3:6], v2 offset:480
	ds_load_b128 v[7:10], v2 offset:560
	v_lshlrev_b64_e32 v[19:20], 4, v[112:113]
	v_add_nc_u32_e32 v112, 40, v108
	ds_load_b128 v[11:14], v2 offset:640
	ds_load_b128 v[15:18], v2 offset:720
	v_add_co_u32 v21, vcc_lo, v0, v27
	s_wait_alu 0xfffd
	v_add_co_ci_u32_e32 v22, vcc_lo, v1, v28, vcc_lo
	v_lshlrev_b64_e32 v[23:24], 4, v[112:113]
	v_add_nc_u32_e32 v112, 45, v108
	v_add_co_u32 v19, vcc_lo, v0, v19
	s_wait_alu 0xfffd
	v_add_co_ci_u32_e32 v20, vcc_lo, v1, v20, vcc_lo
	s_delay_alu instid0(VALU_DEP_3) | instskip(SKIP_4) | instid1(VALU_DEP_4)
	v_lshlrev_b64_e32 v[25:26], 4, v[112:113]
	v_add_nc_u32_e32 v112, 50, v108
	v_add_co_u32 v23, vcc_lo, v0, v23
	s_wait_alu 0xfffd
	v_add_co_ci_u32_e32 v24, vcc_lo, v1, v24, vcc_lo
	v_add_co_u32 v25, vcc_lo, v0, v25
	v_lshlrev_b64_e32 v[27:28], 4, v[112:113]
	v_add_nc_u32_e32 v112, 55, v108
	s_wait_alu 0xfffd
	v_add_co_ci_u32_e32 v26, vcc_lo, v1, v26, vcc_lo
	s_wait_dscnt 0x3
	global_store_b128 v[21:22], v[3:6], off
	s_wait_dscnt 0x2
	global_store_b128 v[19:20], v[7:10], off
	s_wait_dscnt 0x1
	global_store_b128 v[23:24], v[11:14], off
	s_wait_dscnt 0x0
	global_store_b128 v[25:26], v[15:18], off
	ds_load_b128 v[3:6], v2 offset:800
	ds_load_b128 v[7:10], v2 offset:880
	v_lshlrev_b64_e32 v[19:20], 4, v[112:113]
	v_add_nc_u32_e32 v112, 60, v108
	ds_load_b128 v[11:14], v2 offset:960
	ds_load_b128 v[15:18], v2 offset:1040
	v_add_co_u32 v21, vcc_lo, v0, v27
	s_wait_alu 0xfffd
	v_add_co_ci_u32_e32 v22, vcc_lo, v1, v28, vcc_lo
	;; [unrolled: 33-line block ×5, first 2 shown]
	v_lshlrev_b64_e32 v[23:24], 4, v[112:113]
	v_add_nc_u32_e32 v112, 0x7d, v108
	v_add_co_u32 v19, vcc_lo, v0, v19
	s_wait_alu 0xfffd
	v_add_co_ci_u32_e32 v20, vcc_lo, v1, v20, vcc_lo
	s_delay_alu instid0(VALU_DEP_3) | instskip(SKIP_4) | instid1(VALU_DEP_3)
	v_lshlrev_b64_e32 v[25:26], 4, v[112:113]
	v_add_nc_u32_e32 v112, 0x82, v108
	v_add_co_u32 v23, vcc_lo, v0, v23
	s_wait_alu 0xfffd
	v_add_co_ci_u32_e32 v24, vcc_lo, v1, v24, vcc_lo
	v_lshlrev_b64_e32 v[27:28], 4, v[112:113]
	v_add_nc_u32_e32 v112, 0x87, v108
	v_add_co_u32 v25, vcc_lo, v0, v25
	s_wait_alu 0xfffd
	v_add_co_ci_u32_e32 v26, vcc_lo, v1, v26, vcc_lo
	s_wait_dscnt 0x3
	global_store_b128 v[21:22], v[3:6], off
	s_wait_dscnt 0x2
	global_store_b128 v[19:20], v[7:10], off
	;; [unrolled: 2-line block ×4, first 2 shown]
	v_lshlrev_b64_e32 v[21:22], 4, v[112:113]
	v_add_nc_u32_e32 v112, 0x8c, v108
	ds_load_b128 v[3:6], v2 offset:2080
	ds_load_b128 v[7:10], v2 offset:2160
	;; [unrolled: 1-line block ×4, first 2 shown]
	v_add_co_u32 v19, vcc_lo, v0, v27
	s_wait_alu 0xfffd
	v_add_co_ci_u32_e32 v20, vcc_lo, v1, v28, vcc_lo
	v_lshlrev_b64_e32 v[23:24], 4, v[112:113]
	v_add_nc_u32_e32 v112, 0x91, v108
	v_add_co_u32 v21, vcc_lo, v0, v21
	s_wait_alu 0xfffd
	v_add_co_ci_u32_e32 v22, vcc_lo, v1, v22, vcc_lo
	s_delay_alu instid0(VALU_DEP_3) | instskip(SKIP_3) | instid1(VALU_DEP_3)
	v_lshlrev_b64_e32 v[25:26], 4, v[112:113]
	v_add_co_u32 v23, vcc_lo, v0, v23
	s_wait_alu 0xfffd
	v_add_co_ci_u32_e32 v24, vcc_lo, v1, v24, vcc_lo
	v_add_co_u32 v25, vcc_lo, v0, v25
	s_wait_alu 0xfffd
	v_add_co_ci_u32_e32 v26, vcc_lo, v1, v26, vcc_lo
	v_cmp_eq_u32_e32 vcc_lo, 4, v108
	s_wait_dscnt 0x3
	global_store_b128 v[19:20], v[3:6], off
	s_wait_dscnt 0x2
	global_store_b128 v[21:22], v[7:10], off
	;; [unrolled: 2-line block ×4, first 2 shown]
	s_and_b32 exec_lo, exec_lo, vcc_lo
	s_cbranch_execz .LBB0_19
; %bb.18:
	ds_load_b128 v[2:5], v2 offset:2336
	s_wait_dscnt 0x0
	global_store_b128 v[0:1], v[2:5], off offset:2400
.LBB0_19:
	s_nop 0
	s_sendmsg sendmsg(MSG_DEALLOC_VGPRS)
	s_endpgm
	.section	.rodata,"a",@progbits
	.p2align	6, 0x0
	.amdhsa_kernel fft_rtc_back_len150_factors_10_5_3_wgs_60_tpt_5_halfLds_dp_op_CI_CI_unitstride_sbrr_R2C_dirReg
		.amdhsa_group_segment_fixed_size 0
		.amdhsa_private_segment_fixed_size 0
		.amdhsa_kernarg_size 104
		.amdhsa_user_sgpr_count 2
		.amdhsa_user_sgpr_dispatch_ptr 0
		.amdhsa_user_sgpr_queue_ptr 0
		.amdhsa_user_sgpr_kernarg_segment_ptr 1
		.amdhsa_user_sgpr_dispatch_id 0
		.amdhsa_user_sgpr_private_segment_size 0
		.amdhsa_wavefront_size32 1
		.amdhsa_uses_dynamic_stack 0
		.amdhsa_enable_private_segment 0
		.amdhsa_system_sgpr_workgroup_id_x 1
		.amdhsa_system_sgpr_workgroup_id_y 0
		.amdhsa_system_sgpr_workgroup_id_z 0
		.amdhsa_system_sgpr_workgroup_info 0
		.amdhsa_system_vgpr_workitem_id 0
		.amdhsa_next_free_vgpr 247
		.amdhsa_next_free_sgpr 39
		.amdhsa_reserve_vcc 1
		.amdhsa_float_round_mode_32 0
		.amdhsa_float_round_mode_16_64 0
		.amdhsa_float_denorm_mode_32 3
		.amdhsa_float_denorm_mode_16_64 3
		.amdhsa_fp16_overflow 0
		.amdhsa_workgroup_processor_mode 1
		.amdhsa_memory_ordered 1
		.amdhsa_forward_progress 0
		.amdhsa_round_robin_scheduling 0
		.amdhsa_exception_fp_ieee_invalid_op 0
		.amdhsa_exception_fp_denorm_src 0
		.amdhsa_exception_fp_ieee_div_zero 0
		.amdhsa_exception_fp_ieee_overflow 0
		.amdhsa_exception_fp_ieee_underflow 0
		.amdhsa_exception_fp_ieee_inexact 0
		.amdhsa_exception_int_div_zero 0
	.end_amdhsa_kernel
	.text
.Lfunc_end0:
	.size	fft_rtc_back_len150_factors_10_5_3_wgs_60_tpt_5_halfLds_dp_op_CI_CI_unitstride_sbrr_R2C_dirReg, .Lfunc_end0-fft_rtc_back_len150_factors_10_5_3_wgs_60_tpt_5_halfLds_dp_op_CI_CI_unitstride_sbrr_R2C_dirReg
                                        ; -- End function
	.section	.AMDGPU.csdata,"",@progbits
; Kernel info:
; codeLenInByte = 17588
; NumSgprs: 41
; NumVgprs: 247
; ScratchSize: 0
; MemoryBound: 0
; FloatMode: 240
; IeeeMode: 1
; LDSByteSize: 0 bytes/workgroup (compile time only)
; SGPRBlocks: 5
; VGPRBlocks: 30
; NumSGPRsForWavesPerEU: 41
; NumVGPRsForWavesPerEU: 247
; Occupancy: 5
; WaveLimiterHint : 1
; COMPUTE_PGM_RSRC2:SCRATCH_EN: 0
; COMPUTE_PGM_RSRC2:USER_SGPR: 2
; COMPUTE_PGM_RSRC2:TRAP_HANDLER: 0
; COMPUTE_PGM_RSRC2:TGID_X_EN: 1
; COMPUTE_PGM_RSRC2:TGID_Y_EN: 0
; COMPUTE_PGM_RSRC2:TGID_Z_EN: 0
; COMPUTE_PGM_RSRC2:TIDIG_COMP_CNT: 0
	.text
	.p2alignl 7, 3214868480
	.fill 96, 4, 3214868480
	.type	__hip_cuid_f1d25eec00f50ab1,@object ; @__hip_cuid_f1d25eec00f50ab1
	.section	.bss,"aw",@nobits
	.globl	__hip_cuid_f1d25eec00f50ab1
__hip_cuid_f1d25eec00f50ab1:
	.byte	0                               ; 0x0
	.size	__hip_cuid_f1d25eec00f50ab1, 1

	.ident	"AMD clang version 19.0.0git (https://github.com/RadeonOpenCompute/llvm-project roc-6.4.0 25133 c7fe45cf4b819c5991fe208aaa96edf142730f1d)"
	.section	".note.GNU-stack","",@progbits
	.addrsig
	.addrsig_sym __hip_cuid_f1d25eec00f50ab1
	.amdgpu_metadata
---
amdhsa.kernels:
  - .args:
      - .actual_access:  read_only
        .address_space:  global
        .offset:         0
        .size:           8
        .value_kind:     global_buffer
      - .offset:         8
        .size:           8
        .value_kind:     by_value
      - .actual_access:  read_only
        .address_space:  global
        .offset:         16
        .size:           8
        .value_kind:     global_buffer
      - .actual_access:  read_only
        .address_space:  global
        .offset:         24
        .size:           8
        .value_kind:     global_buffer
      - .actual_access:  read_only
        .address_space:  global
        .offset:         32
        .size:           8
        .value_kind:     global_buffer
      - .offset:         40
        .size:           8
        .value_kind:     by_value
      - .actual_access:  read_only
        .address_space:  global
        .offset:         48
        .size:           8
        .value_kind:     global_buffer
      - .actual_access:  read_only
        .address_space:  global
        .offset:         56
        .size:           8
        .value_kind:     global_buffer
      - .offset:         64
        .size:           4
        .value_kind:     by_value
      - .actual_access:  read_only
        .address_space:  global
        .offset:         72
        .size:           8
        .value_kind:     global_buffer
      - .actual_access:  read_only
        .address_space:  global
        .offset:         80
        .size:           8
        .value_kind:     global_buffer
      - .actual_access:  read_only
        .address_space:  global
        .offset:         88
        .size:           8
        .value_kind:     global_buffer
      - .actual_access:  write_only
        .address_space:  global
        .offset:         96
        .size:           8
        .value_kind:     global_buffer
    .group_segment_fixed_size: 0
    .kernarg_segment_align: 8
    .kernarg_segment_size: 104
    .language:       OpenCL C
    .language_version:
      - 2
      - 0
    .max_flat_workgroup_size: 60
    .name:           fft_rtc_back_len150_factors_10_5_3_wgs_60_tpt_5_halfLds_dp_op_CI_CI_unitstride_sbrr_R2C_dirReg
    .private_segment_fixed_size: 0
    .sgpr_count:     41
    .sgpr_spill_count: 0
    .symbol:         fft_rtc_back_len150_factors_10_5_3_wgs_60_tpt_5_halfLds_dp_op_CI_CI_unitstride_sbrr_R2C_dirReg.kd
    .uniform_work_group_size: 1
    .uses_dynamic_stack: false
    .vgpr_count:     247
    .vgpr_spill_count: 0
    .wavefront_size: 32
    .workgroup_processor_mode: 1
amdhsa.target:   amdgcn-amd-amdhsa--gfx1201
amdhsa.version:
  - 1
  - 2
...

	.end_amdgpu_metadata
